;; amdgpu-corpus repo=pytorch/pytorch kind=compiled arch=gfx90a opt=O3
	.text
	.amdgcn_target "amdgcn-amd-amdhsa--gfx90a"
	.amdhsa_code_object_version 6
	.section	.text._ZN2at6native28rrelu_with_noise_cuda_kernelIdLi2EZNS0_28_rrelu_with_noise_cuda_trainIdEEvRNS_6TensorERKS3_S4_RKN3c106ScalarESA_St8optionalINS_9GeneratorEEEUlP25hiprandStatePhilox4_32_10E_EEviNS_15PhiloxCudaStateEPT_PKSI_SJ_ddRKT1_,"axG",@progbits,_ZN2at6native28rrelu_with_noise_cuda_kernelIdLi2EZNS0_28_rrelu_with_noise_cuda_trainIdEEvRNS_6TensorERKS3_S4_RKN3c106ScalarESA_St8optionalINS_9GeneratorEEEUlP25hiprandStatePhilox4_32_10E_EEviNS_15PhiloxCudaStateEPT_PKSI_SJ_ddRKT1_,comdat
	.protected	_ZN2at6native28rrelu_with_noise_cuda_kernelIdLi2EZNS0_28_rrelu_with_noise_cuda_trainIdEEvRNS_6TensorERKS3_S4_RKN3c106ScalarESA_St8optionalINS_9GeneratorEEEUlP25hiprandStatePhilox4_32_10E_EEviNS_15PhiloxCudaStateEPT_PKSI_SJ_ddRKT1_ ; -- Begin function _ZN2at6native28rrelu_with_noise_cuda_kernelIdLi2EZNS0_28_rrelu_with_noise_cuda_trainIdEEvRNS_6TensorERKS3_S4_RKN3c106ScalarESA_St8optionalINS_9GeneratorEEEUlP25hiprandStatePhilox4_32_10E_EEviNS_15PhiloxCudaStateEPT_PKSI_SJ_ddRKT1_
	.globl	_ZN2at6native28rrelu_with_noise_cuda_kernelIdLi2EZNS0_28_rrelu_with_noise_cuda_trainIdEEvRNS_6TensorERKS3_S4_RKN3c106ScalarESA_St8optionalINS_9GeneratorEEEUlP25hiprandStatePhilox4_32_10E_EEviNS_15PhiloxCudaStateEPT_PKSI_SJ_ddRKT1_
	.p2align	8
	.type	_ZN2at6native28rrelu_with_noise_cuda_kernelIdLi2EZNS0_28_rrelu_with_noise_cuda_trainIdEEvRNS_6TensorERKS3_S4_RKN3c106ScalarESA_St8optionalINS_9GeneratorEEEUlP25hiprandStatePhilox4_32_10E_EEviNS_15PhiloxCudaStateEPT_PKSI_SJ_ddRKT1_,@function
_ZN2at6native28rrelu_with_noise_cuda_kernelIdLi2EZNS0_28_rrelu_with_noise_cuda_trainIdEEvRNS_6TensorERKS3_S4_RKN3c106ScalarESA_St8optionalINS_9GeneratorEEEUlP25hiprandStatePhilox4_32_10E_EEviNS_15PhiloxCudaStateEPT_PKSI_SJ_ddRKT1_: ; @_ZN2at6native28rrelu_with_noise_cuda_kernelIdLi2EZNS0_28_rrelu_with_noise_cuda_trainIdEEvRNS_6TensorERKS3_S4_RKN3c106ScalarESA_St8optionalINS_9GeneratorEEEUlP25hiprandStatePhilox4_32_10E_EEviNS_15PhiloxCudaStateEPT_PKSI_SJ_ddRKT1_
; %bb.0:
	s_load_dword s7, s[4:5], 0x20
	s_load_dwordx4 s[0:3], s[4:5], 0x8
	s_waitcnt lgkmcnt(0)
	s_bitcmp0_b32 s7, 0
	v_pk_mov_b32 v[2:3], s[2:3], s[2:3] op_sel:[0,1]
	v_pk_mov_b32 v[14:15], s[0:1], s[0:1] op_sel:[0,1]
	s_cbranch_scc1 .LBB0_2
; %bb.1:
	v_pk_mov_b32 v[2:3], s[2:3], s[2:3] op_sel:[0,1]
	flat_load_dwordx2 v[2:3], v[2:3]
	v_pk_mov_b32 v[4:5], s[0:1], s[0:1] op_sel:[0,1]
	flat_load_dwordx2 v[14:15], v[4:5]
	s_load_dwordx2 s[0:1], s[4:5], 0x18
	s_waitcnt lgkmcnt(0)
	v_mov_b32_e32 v1, s1
	s_waitcnt vmcnt(0)
	v_add_co_u32_e32 v2, vcc, s0, v2
	v_addc_co_u32_e32 v3, vcc, v3, v1, vcc
.LBB0_2:
	s_load_dword s1, s[4:5], 0x64
	s_load_dword s0, s[4:5], 0x58
	s_load_dword s7, s[4:5], 0x0
	s_waitcnt lgkmcnt(0)
	s_and_b32 s1, s1, 0xffff
	s_mul_i32 s2, s0, s1
	s_lshl_b32 s16, s2, 1
	s_abs_i32 s2, s16
	v_cvt_f32_u32_e32 v1, s2
	s_sub_i32 s9, 0, s2
	s_add_i32 s3, s7, -1
	s_abs_i32 s8, s3
	v_rcp_iflag_f32_e32 v4, v1
	s_xor_b32 s3, s3, s16
	s_ashr_i32 s3, s3, 31
	s_mul_i32 s17, s6, s1
	v_mul_f32_e32 v4, 0x4f7ffffe, v4
	v_cvt_u32_f32_e32 v4, v4
	v_add_u32_e32 v1, s17, v0
	v_readfirstlane_b32 s10, v4
	s_mul_i32 s9, s9, s10
	s_mul_hi_u32 s9, s10, s9
	s_add_i32 s10, s10, s9
	s_mul_hi_u32 s9, s8, s10
	s_mul_i32 s10, s9, s2
	s_sub_i32 s8, s8, s10
	s_add_i32 s11, s9, 1
	s_sub_i32 s10, s8, s2
	s_cmp_ge_u32 s8, s2
	s_cselect_b32 s9, s11, s9
	s_cselect_b32 s8, s10, s8
	s_add_i32 s10, s9, 1
	s_cmp_ge_u32 s8, s2
	s_cselect_b32 s2, s10, s9
	s_xor_b32 s2, s2, s3
	s_sub_i32 s2, s2, s3
	s_add_i32 s2, s2, 1
	s_mul_i32 s18, s16, s2
	v_cmp_gt_i32_e32 vcc, s18, v1
	s_and_saveexec_b64 s[2:3], vcc
	s_cbranch_execz .LBB0_19
; %bb.3:
	s_load_dwordx8 s[8:15], s[4:5], 0x28
	s_load_dwordx2 s[2:3], s[4:5], 0x48
	v_mov_b32_e32 v4, v15
	v_alignbit_b32 v31, v3, v2, 2
	s_mov_b32 s19, 0xd2511f53
	s_waitcnt lgkmcnt(0)
	v_pk_mov_b32 v[6:7], s[14:15], s[14:15] op_sel:[0,1]
	v_add_f64 v[16:17], s[2:3], -v[6:7]
	s_mov_b32 s2, 0xdb3d7428
	v_add_co_u32_e32 v23, vcc, s2, v4
	s_mov_b32 s2, 0x5384540f
	v_add_co_u32_e32 v24, vcc, s2, v14
	;; [unrolled: 2-line block ×8, first 2 shown]
	v_mad_u64_u32 v[6:7], s[2:3], v31, s19, 0
	v_and_b32_e32 v20, 3, v2
	v_xor_b32_e32 v2, v7, v15
	v_ashrrev_i32_e32 v32, 31, v1
	v_xor_b32_e32 v2, v2, v32
	s_mov_b32 s20, 0xcd9e8d57
	v_mad_u64_u32 v[8:9], s[2:3], v2, s20, 0
	v_xor_b32_e32 v2, v30, v9
	v_mad_u64_u32 v[10:11], s[2:3], v1, s20, 0
	v_xor_b32_e32 v2, v2, v10
	v_mad_u64_u32 v[12:13], s[2:3], v2, s19, 0
	v_xor_b32_e32 v2, v14, v11
	v_lshrrev_b32_e32 v33, 2, v3
	v_xor_b32_e32 v2, v2, v33
	v_xor_b32_e32 v5, v29, v13
	v_mad_u64_u32 v[2:3], s[2:3], v2, s19, 0
	v_xor_b32_e32 v2, v5, v2
	v_mad_u64_u32 v[10:11], s[2:3], v2, s20, 0
	s_mov_b32 s2, 0xbb67ae85
	v_add_co_u32_e32 v34, vcc, s2, v4
	v_xor_b32_e32 v2, v34, v3
	v_xor_b32_e32 v2, v2, v6
	v_xor_b32_e32 v5, v28, v11
	v_mad_u64_u32 v[2:3], s[2:3], v2, s20, 0
	v_xor_b32_e32 v2, v5, v2
	v_mad_u64_u32 v[6:7], s[2:3], v2, s19, 0
	s_mov_b32 s2, 0x3c6ef372
	v_add_co_u32_e32 v35, vcc, s2, v14
	v_xor_b32_e32 v2, v35, v3
	;; [unrolled: 8-line block ×7, first 2 shown]
	v_xor_b32_e32 v2, v2, v12
	v_mad_u64_u32 v[2:3], s[2:3], v2, s20, 0
	s_mov_b32 s2, 0xf1bbcdc8
	v_add_co_u32_e32 v41, vcc, s2, v14
	v_xor_b32_e32 v3, v41, v3
	v_xor_b32_e32 v3, v3, v10
	v_mad_u64_u32 v[10:11], s[2:3], v3, s19, 0
	v_add_u32_e32 v21, 0x8ff34781, v14
	v_add_u32_e32 v22, 0x96a522ad, v15
	v_xor_b32_e32 v2, v9, v2
	v_xor_b32_e32 v3, v11, v6
	s_add_i32 s6, s6, s0
	v_xor_b32_e32 v2, v21, v2
	v_xor_b32_e32 v4, v22, v3
	v_mov_b32_e32 v3, v8
	v_mov_b32_e32 v5, v10
	s_mul_i32 s6, s6, s1
	s_mov_b64 s[0:1], 0
	v_mov_b32_e32 v42, 0x3ff00000
	s_branch .LBB0_5
.LBB0_4:                                ;   in Loop: Header=BB0_5 Depth=1
	s_or_b64 exec, exec, s[2:3]
	v_add_u32_e32 v0, s16, v0
	v_add_u32_e32 v2, s17, v0
	v_mov_b32_e32 v9, v18
	v_cmp_le_i32_e32 vcc, s18, v2
	v_pk_mov_b32 v[2:3], v[6:7], v[6:7] op_sel:[0,1]
	s_or_b64 s[0:1], vcc, s[0:1]
	v_pk_mov_b32 v[4:5], v[8:9], v[8:9] op_sel:[0,1]
	s_barrier
	s_andn2_b64 exec, exec, s[0:1]
	s_cbranch_execz .LBB0_19
.LBB0_5:                                ; =>This Inner Loop Header: Depth=1
	v_add_co_u32_e32 v31, vcc, 1, v31
	v_cndmask_b32_e64 v6, 0, 1, vcc
	v_addc_co_u32_e32 v33, vcc, 0, v33, vcc
	v_cmp_eq_u32_e32 vcc, 0, v33
	v_cndmask_b32_e32 v6, 0, v6, vcc
	v_add_u32_e32 v1, v6, v1
	v_cmp_eq_u32_e32 vcc, 0, v1
	v_cndmask_b32_e32 v6, 0, v6, vcc
	v_add_u32_e32 v32, v6, v32
	v_mad_u64_u32 v[6:7], s[2:3], v31, s19, 0
	v_mad_u64_u32 v[8:9], s[2:3], v1, s20, 0
	v_xor_b32_e32 v7, v7, v15
	v_xor_b32_e32 v9, v9, v14
	v_xor_b32_e32 v7, v32, v7
	v_xor_b32_e32 v9, v33, v9
	v_mad_u64_u32 v[12:13], s[2:3], v7, s20, 0
	v_mad_u64_u32 v[10:11], s[2:3], v9, s19, 0
	v_xor_b32_e32 v7, v30, v13
	v_xor_b32_e32 v7, v7, v8
	v_xor_b32_e32 v8, v34, v11
	v_xor_b32_e32 v8, v8, v6
	;; [unrolled: 6-line block ×10, first 2 shown]
	v_mov_b32_e32 v7, v12
	v_mov_b32_e32 v8, v13
	v_cmp_lt_i32_e32 vcc, 1, v20
	s_and_saveexec_b64 s[2:3], vcc
	s_xor_b64 s[2:3], exec, s[2:3]
	s_cbranch_execz .LBB0_11
; %bb.6:                                ;   in Loop: Header=BB0_5 Depth=1
	v_cmp_lt_i32_e32 vcc, 2, v20
	s_and_saveexec_b64 s[4:5], vcc
	s_xor_b64 s[4:5], exec, s[4:5]
; %bb.7:                                ;   in Loop: Header=BB0_5 Depth=1
	v_mov_b32_e32 v10, v5
	v_mov_b32_e32 v11, v6
	v_pk_mov_b32 v[2:3], v[10:11], v[10:11] op_sel:[0,1]
	v_pk_mov_b32 v[4:5], v[12:13], v[12:13] op_sel:[0,1]
                                        ; implicit-def: $vgpr12_vgpr13
; %bb.8:                                ;   in Loop: Header=BB0_5 Depth=1
	s_andn2_saveexec_b64 s[4:5], s[4:5]
; %bb.9:                                ;   in Loop: Header=BB0_5 Depth=1
	v_mov_b32_e32 v2, v4
	v_mov_b32_e32 v3, v5
	;; [unrolled: 1-line block ×4, first 2 shown]
; %bb.10:                               ;   in Loop: Header=BB0_5 Depth=1
	s_or_b64 exec, exec, s[4:5]
.LBB0_11:                               ;   in Loop: Header=BB0_5 Depth=1
	s_andn2_saveexec_b64 s[2:3], s[2:3]
	s_cbranch_execz .LBB0_15
; %bb.12:                               ;   in Loop: Header=BB0_5 Depth=1
	v_cmp_eq_u32_e32 vcc, 1, v20
	s_and_saveexec_b64 s[4:5], vcc
; %bb.13:                               ;   in Loop: Header=BB0_5 Depth=1
	v_mov_b32_e32 v2, v3
	v_mov_b32_e32 v3, v4
	;; [unrolled: 1-line block ×4, first 2 shown]
; %bb.14:                               ;   in Loop: Header=BB0_5 Depth=1
	s_or_b64 exec, exec, s[4:5]
.LBB0_15:                               ;   in Loop: Header=BB0_5 Depth=1
	s_or_b64 exec, exec, s[2:3]
	v_add_u32_e32 v10, s17, v0
	v_cmp_gt_i32_e32 vcc, s7, v10
	s_and_saveexec_b64 s[2:3], vcc
	s_cbranch_execz .LBB0_17
; %bb.16:                               ;   in Loop: Header=BB0_5 Depth=1
	v_ashrrev_i32_e32 v11, 31, v10
	v_lshlrev_b64 v[10:11], 3, v[10:11]
	v_mov_b32_e32 v9, s11
	v_add_co_u32_e32 v12, vcc, s10, v10
	v_addc_co_u32_e32 v13, vcc, v9, v11, vcc
	global_load_dwordx2 v[12:13], v[12:13], off
	v_lshrrev_b32_e32 v9, 11, v3
	v_cvt_f64_u32_e32 v[46:47], v9
	v_cvt_f64_u32_e32 v[2:3], v2
	v_mov_b32_e32 v44, 0
	v_mov_b32_e32 v19, s9
	v_ldexp_f64 v[46:47], v[46:47], 32
	v_add_co_u32_e32 v48, vcc, s8, v10
	v_mov_b32_e32 v45, 0x3ca00000
	v_addc_co_u32_e32 v49, vcc, v19, v11, vcc
	v_add_f64 v[2:3], v[46:47], v[2:3]
	v_mov_b32_e32 v43, s13
	v_add_co_u32_e32 v10, vcc, s12, v10
	v_fmac_f64_e32 v[44:45], 0x3ca00000, v[2:3]
	v_addc_co_u32_e32 v11, vcc, v43, v11, vcc
	v_fma_f64 v[2:3], v[16:17], v[44:45], s[14:15]
	s_waitcnt vmcnt(0)
	v_mul_f64 v[44:45], v[12:13], v[2:3]
	v_cmp_nge_f64_e32 vcc, 0, v[12:13]
	v_cndmask_b32_e32 v13, v45, v13, vcc
	v_cndmask_b32_e32 v12, v44, v12, vcc
	;; [unrolled: 1-line block ×3, first 2 shown]
	v_cndmask_b32_e64 v2, v2, 0, vcc
	global_store_dwordx2 v[48:49], v[12:13], off
	global_store_dwordx2 v[10:11], v[2:3], off
.LBB0_17:                               ;   in Loop: Header=BB0_5 Depth=1
	s_or_b64 exec, exec, s[2:3]
	v_add_u32_e32 v2, s6, v0
	v_cmp_gt_i32_e32 vcc, s7, v2
	s_and_saveexec_b64 s[2:3], vcc
	s_cbranch_execz .LBB0_4
; %bb.18:                               ;   in Loop: Header=BB0_5 Depth=1
	v_ashrrev_i32_e32 v3, 31, v2
	v_lshlrev_b64 v[2:3], 3, v[2:3]
	v_mov_b32_e32 v9, s11
	v_add_co_u32_e32 v10, vcc, s10, v2
	v_addc_co_u32_e32 v11, vcc, v9, v3, vcc
	global_load_dwordx2 v[10:11], v[10:11], off
	v_lshrrev_b32_e32 v9, 11, v5
	v_cvt_f64_u32_e32 v[44:45], v9
	v_cvt_f64_u32_e32 v[4:5], v4
	v_mov_b32_e32 v12, 0
	v_mov_b32_e32 v19, s9
	v_ldexp_f64 v[44:45], v[44:45], 32
	v_add_co_u32_e32 v46, vcc, s8, v2
	v_mov_b32_e32 v13, 0x3ca00000
	v_addc_co_u32_e32 v47, vcc, v19, v3, vcc
	v_add_f64 v[4:5], v[44:45], v[4:5]
	v_mov_b32_e32 v43, s13
	v_add_co_u32_e32 v2, vcc, s12, v2
	v_fmac_f64_e32 v[12:13], 0x3ca00000, v[4:5]
	v_addc_co_u32_e32 v3, vcc, v43, v3, vcc
	v_fma_f64 v[4:5], v[16:17], v[12:13], s[14:15]
	s_waitcnt vmcnt(0)
	v_mul_f64 v[12:13], v[10:11], v[4:5]
	v_cmp_nge_f64_e32 vcc, 0, v[10:11]
	v_cndmask_b32_e32 v11, v13, v11, vcc
	v_cndmask_b32_e32 v10, v12, v10, vcc
	v_cndmask_b32_e32 v5, v5, v42, vcc
	v_cndmask_b32_e64 v4, v4, 0, vcc
	global_store_dwordx2 v[46:47], v[10:11], off
	global_store_dwordx2 v[2:3], v[4:5], off
	s_branch .LBB0_4
.LBB0_19:
	s_endpgm
	.section	.rodata,"a",@progbits
	.p2align	6, 0x0
	.amdhsa_kernel _ZN2at6native28rrelu_with_noise_cuda_kernelIdLi2EZNS0_28_rrelu_with_noise_cuda_trainIdEEvRNS_6TensorERKS3_S4_RKN3c106ScalarESA_St8optionalINS_9GeneratorEEEUlP25hiprandStatePhilox4_32_10E_EEviNS_15PhiloxCudaStateEPT_PKSI_SJ_ddRKT1_
		.amdhsa_group_segment_fixed_size 0
		.amdhsa_private_segment_fixed_size 0
		.amdhsa_kernarg_size 344
		.amdhsa_user_sgpr_count 6
		.amdhsa_user_sgpr_private_segment_buffer 1
		.amdhsa_user_sgpr_dispatch_ptr 0
		.amdhsa_user_sgpr_queue_ptr 0
		.amdhsa_user_sgpr_kernarg_segment_ptr 1
		.amdhsa_user_sgpr_dispatch_id 0
		.amdhsa_user_sgpr_flat_scratch_init 0
		.amdhsa_user_sgpr_kernarg_preload_length 0
		.amdhsa_user_sgpr_kernarg_preload_offset 0
		.amdhsa_user_sgpr_private_segment_size 0
		.amdhsa_uses_dynamic_stack 0
		.amdhsa_system_sgpr_private_segment_wavefront_offset 0
		.amdhsa_system_sgpr_workgroup_id_x 1
		.amdhsa_system_sgpr_workgroup_id_y 0
		.amdhsa_system_sgpr_workgroup_id_z 0
		.amdhsa_system_sgpr_workgroup_info 0
		.amdhsa_system_vgpr_workitem_id 0
		.amdhsa_next_free_vgpr 50
		.amdhsa_next_free_sgpr 21
		.amdhsa_accum_offset 52
		.amdhsa_reserve_vcc 1
		.amdhsa_reserve_flat_scratch 0
		.amdhsa_float_round_mode_32 0
		.amdhsa_float_round_mode_16_64 0
		.amdhsa_float_denorm_mode_32 3
		.amdhsa_float_denorm_mode_16_64 3
		.amdhsa_dx10_clamp 1
		.amdhsa_ieee_mode 1
		.amdhsa_fp16_overflow 0
		.amdhsa_tg_split 0
		.amdhsa_exception_fp_ieee_invalid_op 0
		.amdhsa_exception_fp_denorm_src 0
		.amdhsa_exception_fp_ieee_div_zero 0
		.amdhsa_exception_fp_ieee_overflow 0
		.amdhsa_exception_fp_ieee_underflow 0
		.amdhsa_exception_fp_ieee_inexact 0
		.amdhsa_exception_int_div_zero 0
	.end_amdhsa_kernel
	.section	.text._ZN2at6native28rrelu_with_noise_cuda_kernelIdLi2EZNS0_28_rrelu_with_noise_cuda_trainIdEEvRNS_6TensorERKS3_S4_RKN3c106ScalarESA_St8optionalINS_9GeneratorEEEUlP25hiprandStatePhilox4_32_10E_EEviNS_15PhiloxCudaStateEPT_PKSI_SJ_ddRKT1_,"axG",@progbits,_ZN2at6native28rrelu_with_noise_cuda_kernelIdLi2EZNS0_28_rrelu_with_noise_cuda_trainIdEEvRNS_6TensorERKS3_S4_RKN3c106ScalarESA_St8optionalINS_9GeneratorEEEUlP25hiprandStatePhilox4_32_10E_EEviNS_15PhiloxCudaStateEPT_PKSI_SJ_ddRKT1_,comdat
.Lfunc_end0:
	.size	_ZN2at6native28rrelu_with_noise_cuda_kernelIdLi2EZNS0_28_rrelu_with_noise_cuda_trainIdEEvRNS_6TensorERKS3_S4_RKN3c106ScalarESA_St8optionalINS_9GeneratorEEEUlP25hiprandStatePhilox4_32_10E_EEviNS_15PhiloxCudaStateEPT_PKSI_SJ_ddRKT1_, .Lfunc_end0-_ZN2at6native28rrelu_with_noise_cuda_kernelIdLi2EZNS0_28_rrelu_with_noise_cuda_trainIdEEvRNS_6TensorERKS3_S4_RKN3c106ScalarESA_St8optionalINS_9GeneratorEEEUlP25hiprandStatePhilox4_32_10E_EEviNS_15PhiloxCudaStateEPT_PKSI_SJ_ddRKT1_
                                        ; -- End function
	.section	.AMDGPU.csdata,"",@progbits
; Kernel info:
; codeLenInByte = 1832
; NumSgprs: 25
; NumVgprs: 50
; NumAgprs: 0
; TotalNumVgprs: 50
; ScratchSize: 0
; MemoryBound: 0
; FloatMode: 240
; IeeeMode: 1
; LDSByteSize: 0 bytes/workgroup (compile time only)
; SGPRBlocks: 3
; VGPRBlocks: 6
; NumSGPRsForWavesPerEU: 25
; NumVGPRsForWavesPerEU: 50
; AccumOffset: 52
; Occupancy: 8
; WaveLimiterHint : 0
; COMPUTE_PGM_RSRC2:SCRATCH_EN: 0
; COMPUTE_PGM_RSRC2:USER_SGPR: 6
; COMPUTE_PGM_RSRC2:TRAP_HANDLER: 0
; COMPUTE_PGM_RSRC2:TGID_X_EN: 1
; COMPUTE_PGM_RSRC2:TGID_Y_EN: 0
; COMPUTE_PGM_RSRC2:TGID_Z_EN: 0
; COMPUTE_PGM_RSRC2:TIDIG_COMP_CNT: 0
; COMPUTE_PGM_RSRC3_GFX90A:ACCUM_OFFSET: 12
; COMPUTE_PGM_RSRC3_GFX90A:TG_SPLIT: 0
	.section	.text._ZN2at6native28rrelu_with_noise_cuda_kernelIdLi4EZNS0_28_rrelu_with_noise_cuda_trainIdEEvRNS_6TensorERKS3_S4_RKN3c106ScalarESA_St8optionalINS_9GeneratorEEEUlP25hiprandStatePhilox4_32_10E0_EEviNS_15PhiloxCudaStateEPT_PKSI_SJ_ddRKT1_,"axG",@progbits,_ZN2at6native28rrelu_with_noise_cuda_kernelIdLi4EZNS0_28_rrelu_with_noise_cuda_trainIdEEvRNS_6TensorERKS3_S4_RKN3c106ScalarESA_St8optionalINS_9GeneratorEEEUlP25hiprandStatePhilox4_32_10E0_EEviNS_15PhiloxCudaStateEPT_PKSI_SJ_ddRKT1_,comdat
	.protected	_ZN2at6native28rrelu_with_noise_cuda_kernelIdLi4EZNS0_28_rrelu_with_noise_cuda_trainIdEEvRNS_6TensorERKS3_S4_RKN3c106ScalarESA_St8optionalINS_9GeneratorEEEUlP25hiprandStatePhilox4_32_10E0_EEviNS_15PhiloxCudaStateEPT_PKSI_SJ_ddRKT1_ ; -- Begin function _ZN2at6native28rrelu_with_noise_cuda_kernelIdLi4EZNS0_28_rrelu_with_noise_cuda_trainIdEEvRNS_6TensorERKS3_S4_RKN3c106ScalarESA_St8optionalINS_9GeneratorEEEUlP25hiprandStatePhilox4_32_10E0_EEviNS_15PhiloxCudaStateEPT_PKSI_SJ_ddRKT1_
	.globl	_ZN2at6native28rrelu_with_noise_cuda_kernelIdLi4EZNS0_28_rrelu_with_noise_cuda_trainIdEEvRNS_6TensorERKS3_S4_RKN3c106ScalarESA_St8optionalINS_9GeneratorEEEUlP25hiprandStatePhilox4_32_10E0_EEviNS_15PhiloxCudaStateEPT_PKSI_SJ_ddRKT1_
	.p2align	8
	.type	_ZN2at6native28rrelu_with_noise_cuda_kernelIdLi4EZNS0_28_rrelu_with_noise_cuda_trainIdEEvRNS_6TensorERKS3_S4_RKN3c106ScalarESA_St8optionalINS_9GeneratorEEEUlP25hiprandStatePhilox4_32_10E0_EEviNS_15PhiloxCudaStateEPT_PKSI_SJ_ddRKT1_,@function
_ZN2at6native28rrelu_with_noise_cuda_kernelIdLi4EZNS0_28_rrelu_with_noise_cuda_trainIdEEvRNS_6TensorERKS3_S4_RKN3c106ScalarESA_St8optionalINS_9GeneratorEEEUlP25hiprandStatePhilox4_32_10E0_EEviNS_15PhiloxCudaStateEPT_PKSI_SJ_ddRKT1_: ; @_ZN2at6native28rrelu_with_noise_cuda_kernelIdLi4EZNS0_28_rrelu_with_noise_cuda_trainIdEEvRNS_6TensorERKS3_S4_RKN3c106ScalarESA_St8optionalINS_9GeneratorEEEUlP25hiprandStatePhilox4_32_10E0_EEviNS_15PhiloxCudaStateEPT_PKSI_SJ_ddRKT1_
; %bb.0:
	s_load_dword s7, s[4:5], 0x20
	s_load_dwordx4 s[0:3], s[4:5], 0x8
	s_waitcnt lgkmcnt(0)
	s_bitcmp0_b32 s7, 0
	v_pk_mov_b32 v[2:3], s[2:3], s[2:3] op_sel:[0,1]
	v_pk_mov_b32 v[14:15], s[0:1], s[0:1] op_sel:[0,1]
	s_cbranch_scc1 .LBB1_2
; %bb.1:
	v_pk_mov_b32 v[2:3], s[2:3], s[2:3] op_sel:[0,1]
	flat_load_dwordx2 v[2:3], v[2:3]
	v_pk_mov_b32 v[4:5], s[0:1], s[0:1] op_sel:[0,1]
	flat_load_dwordx2 v[14:15], v[4:5]
	s_load_dwordx2 s[0:1], s[4:5], 0x18
	s_waitcnt lgkmcnt(0)
	v_mov_b32_e32 v1, s1
	s_waitcnt vmcnt(0)
	v_add_co_u32_e32 v2, vcc, s0, v2
	v_addc_co_u32_e32 v3, vcc, v3, v1, vcc
.LBB1_2:
	s_load_dword s1, s[4:5], 0x64
	s_load_dword s0, s[4:5], 0x58
	;; [unrolled: 1-line block ×3, first 2 shown]
	s_waitcnt lgkmcnt(0)
	s_and_b32 s1, s1, 0xffff
	s_mul_i32 s2, s0, s1
	s_lshl_b32 s16, s2, 2
	s_abs_i32 s2, s16
	v_cvt_f32_u32_e32 v1, s2
	s_sub_i32 s9, 0, s2
	s_add_i32 s3, s7, -1
	s_abs_i32 s8, s3
	v_rcp_iflag_f32_e32 v4, v1
	s_xor_b32 s3, s3, s16
	s_ashr_i32 s3, s3, 31
	s_mul_i32 s17, s6, s1
	v_mul_f32_e32 v4, 0x4f7ffffe, v4
	v_cvt_u32_f32_e32 v4, v4
	v_add_u32_e32 v1, s17, v0
	v_readfirstlane_b32 s10, v4
	s_mul_i32 s9, s9, s10
	s_mul_hi_u32 s9, s10, s9
	s_add_i32 s10, s10, s9
	s_mul_hi_u32 s9, s8, s10
	s_mul_i32 s10, s9, s2
	s_sub_i32 s8, s8, s10
	s_add_i32 s11, s9, 1
	s_sub_i32 s10, s8, s2
	s_cmp_ge_u32 s8, s2
	s_cselect_b32 s9, s11, s9
	s_cselect_b32 s8, s10, s8
	s_add_i32 s10, s9, 1
	s_cmp_ge_u32 s8, s2
	s_cselect_b32 s2, s10, s9
	s_xor_b32 s2, s2, s3
	s_sub_i32 s2, s2, s3
	s_add_i32 s2, s2, 1
	s_mul_i32 s18, s16, s2
	v_cmp_gt_i32_e32 vcc, s18, v1
	s_and_saveexec_b64 s[2:3], vcc
	s_cbranch_execz .LBB1_23
; %bb.3:
	s_load_dwordx8 s[8:15], s[4:5], 0x28
	s_load_dwordx2 s[2:3], s[4:5], 0x48
	v_mov_b32_e32 v4, v15
	v_alignbit_b32 v31, v3, v2, 2
	s_mov_b32 s19, 0xd2511f53
	s_waitcnt lgkmcnt(0)
	v_pk_mov_b32 v[6:7], s[14:15], s[14:15] op_sel:[0,1]
	v_add_f64 v[16:17], s[2:3], -v[6:7]
	s_mov_b32 s2, 0xdb3d7428
	v_add_co_u32_e32 v23, vcc, s2, v4
	s_mov_b32 s2, 0x5384540f
	v_add_co_u32_e32 v24, vcc, s2, v14
	;; [unrolled: 2-line block ×8, first 2 shown]
	v_mad_u64_u32 v[6:7], s[2:3], v31, s19, 0
	v_and_b32_e32 v20, 3, v2
	v_xor_b32_e32 v2, v7, v15
	v_ashrrev_i32_e32 v32, 31, v1
	v_xor_b32_e32 v2, v2, v32
	s_mov_b32 s20, 0xcd9e8d57
	v_mad_u64_u32 v[8:9], s[2:3], v2, s20, 0
	v_xor_b32_e32 v2, v30, v9
	v_mad_u64_u32 v[10:11], s[2:3], v1, s20, 0
	v_xor_b32_e32 v2, v2, v10
	;; [unrolled: 2-line block ×3, first 2 shown]
	v_lshrrev_b32_e32 v33, 2, v3
	v_xor_b32_e32 v2, v2, v33
	v_xor_b32_e32 v5, v29, v13
	v_mad_u64_u32 v[2:3], s[2:3], v2, s19, 0
	v_xor_b32_e32 v2, v5, v2
	v_mad_u64_u32 v[10:11], s[2:3], v2, s20, 0
	s_mov_b32 s2, 0xbb67ae85
	v_add_co_u32_e32 v34, vcc, s2, v4
	v_xor_b32_e32 v2, v34, v3
	v_xor_b32_e32 v2, v2, v6
	v_xor_b32_e32 v5, v28, v11
	v_mad_u64_u32 v[2:3], s[2:3], v2, s20, 0
	v_xor_b32_e32 v2, v5, v2
	v_mad_u64_u32 v[6:7], s[2:3], v2, s19, 0
	s_mov_b32 s2, 0x3c6ef372
	v_add_co_u32_e32 v35, vcc, s2, v14
	v_xor_b32_e32 v2, v35, v3
	;; [unrolled: 8-line block ×7, first 2 shown]
	v_xor_b32_e32 v2, v2, v12
	v_mad_u64_u32 v[2:3], s[2:3], v2, s20, 0
	s_mov_b32 s2, 0xf1bbcdc8
	v_add_co_u32_e32 v41, vcc, s2, v14
	v_xor_b32_e32 v3, v41, v3
	v_xor_b32_e32 v3, v3, v10
	v_mad_u64_u32 v[10:11], s[2:3], v3, s19, 0
	s_lshl_b32 s2, s0, 1
	s_add_i32 s21, s6, s2
	s_mul_i32 s2, s0, 3
	v_add_u32_e32 v21, 0x8ff34781, v14
	v_add_u32_e32 v22, 0x96a522ad, v15
	v_xor_b32_e32 v2, v9, v2
	v_xor_b32_e32 v3, v11, v6
	s_add_i32 s22, s6, s2
	s_add_i32 s6, s6, s0
	v_xor_b32_e32 v2, v21, v2
	v_xor_b32_e32 v4, v22, v3
	v_mov_b32_e32 v3, v8
	v_mov_b32_e32 v5, v10
	s_mul_i32 s21, s21, s1
	s_mul_i32 s22, s22, s1
	;; [unrolled: 1-line block ×3, first 2 shown]
	s_mov_b64 s[0:1], 0
	v_mov_b32_e32 v42, 0x3ff00000
	s_branch .LBB1_5
.LBB1_4:                                ;   in Loop: Header=BB1_5 Depth=1
	s_or_b64 exec, exec, s[2:3]
	v_add_u32_e32 v0, s16, v0
	v_add_u32_e32 v2, s17, v0
	v_mov_b32_e32 v9, v18
	v_cmp_le_i32_e32 vcc, s18, v2
	v_pk_mov_b32 v[2:3], v[6:7], v[6:7] op_sel:[0,1]
	s_or_b64 s[0:1], vcc, s[0:1]
	v_pk_mov_b32 v[4:5], v[8:9], v[8:9] op_sel:[0,1]
	s_barrier
	s_andn2_b64 exec, exec, s[0:1]
	s_cbranch_execz .LBB1_23
.LBB1_5:                                ; =>This Inner Loop Header: Depth=1
	v_add_co_u32_e32 v31, vcc, 1, v31
	v_cndmask_b32_e64 v6, 0, 1, vcc
	v_addc_co_u32_e32 v33, vcc, 0, v33, vcc
	v_cmp_eq_u32_e32 vcc, 0, v33
	v_cndmask_b32_e32 v6, 0, v6, vcc
	v_add_u32_e32 v1, v6, v1
	v_cmp_eq_u32_e32 vcc, 0, v1
	v_cndmask_b32_e32 v6, 0, v6, vcc
	v_add_u32_e32 v32, v6, v32
	v_mad_u64_u32 v[6:7], s[2:3], v31, s19, 0
	v_mad_u64_u32 v[8:9], s[2:3], v1, s20, 0
	v_xor_b32_e32 v7, v7, v15
	v_xor_b32_e32 v9, v9, v14
	v_xor_b32_e32 v7, v32, v7
	v_xor_b32_e32 v9, v33, v9
	v_mad_u64_u32 v[12:13], s[2:3], v7, s20, 0
	v_mad_u64_u32 v[10:11], s[2:3], v9, s19, 0
	v_xor_b32_e32 v7, v30, v13
	v_xor_b32_e32 v7, v7, v8
	v_xor_b32_e32 v8, v34, v11
	v_xor_b32_e32 v8, v8, v6
	;; [unrolled: 6-line block ×10, first 2 shown]
	v_mov_b32_e32 v7, v12
	v_mov_b32_e32 v8, v13
	v_cmp_lt_i32_e32 vcc, 1, v20
	s_and_saveexec_b64 s[2:3], vcc
	s_xor_b64 s[2:3], exec, s[2:3]
	s_cbranch_execz .LBB1_11
; %bb.6:                                ;   in Loop: Header=BB1_5 Depth=1
	v_cmp_lt_i32_e32 vcc, 2, v20
	s_and_saveexec_b64 s[4:5], vcc
	s_xor_b64 s[4:5], exec, s[4:5]
; %bb.7:                                ;   in Loop: Header=BB1_5 Depth=1
	v_mov_b32_e32 v10, v5
	v_mov_b32_e32 v11, v6
	v_pk_mov_b32 v[2:3], v[10:11], v[10:11] op_sel:[0,1]
	v_pk_mov_b32 v[4:5], v[12:13], v[12:13] op_sel:[0,1]
                                        ; implicit-def: $vgpr12_vgpr13
; %bb.8:                                ;   in Loop: Header=BB1_5 Depth=1
	s_andn2_saveexec_b64 s[4:5], s[4:5]
; %bb.9:                                ;   in Loop: Header=BB1_5 Depth=1
	v_mov_b32_e32 v2, v4
	v_mov_b32_e32 v3, v5
	;; [unrolled: 1-line block ×4, first 2 shown]
; %bb.10:                               ;   in Loop: Header=BB1_5 Depth=1
	s_or_b64 exec, exec, s[4:5]
.LBB1_11:                               ;   in Loop: Header=BB1_5 Depth=1
	s_andn2_saveexec_b64 s[2:3], s[2:3]
	s_cbranch_execz .LBB1_15
; %bb.12:                               ;   in Loop: Header=BB1_5 Depth=1
	v_cmp_eq_u32_e32 vcc, 1, v20
	s_and_saveexec_b64 s[4:5], vcc
; %bb.13:                               ;   in Loop: Header=BB1_5 Depth=1
	v_mov_b32_e32 v2, v3
	v_mov_b32_e32 v3, v4
	;; [unrolled: 1-line block ×4, first 2 shown]
; %bb.14:                               ;   in Loop: Header=BB1_5 Depth=1
	s_or_b64 exec, exec, s[4:5]
.LBB1_15:                               ;   in Loop: Header=BB1_5 Depth=1
	s_or_b64 exec, exec, s[2:3]
	v_add_u32_e32 v10, s17, v0
	v_cmp_gt_i32_e32 vcc, s7, v10
	s_and_saveexec_b64 s[2:3], vcc
	s_cbranch_execz .LBB1_17
; %bb.16:                               ;   in Loop: Header=BB1_5 Depth=1
	v_ashrrev_i32_e32 v11, 31, v10
	v_lshlrev_b64 v[10:11], 3, v[10:11]
	v_mov_b32_e32 v9, s11
	v_add_co_u32_e32 v12, vcc, s10, v10
	v_addc_co_u32_e32 v13, vcc, v9, v11, vcc
	global_load_dwordx2 v[12:13], v[12:13], off
	v_cvt_f32_u32_e32 v2, v2
	v_mov_b32_e32 v9, 0x2f800000
	v_mov_b32_e32 v19, s9
	v_add_co_u32_e32 v44, vcc, s8, v10
	v_addc_co_u32_e32 v45, vcc, v19, v11, vcc
	v_fmac_f32_e32 v9, 0x2f800000, v2
	v_mov_b32_e32 v43, s13
	v_add_co_u32_e32 v10, vcc, s12, v10
	v_cvt_f64_f32_e32 v[46:47], v9
	v_addc_co_u32_e32 v11, vcc, v43, v11, vcc
	v_fma_f64 v[46:47], v[16:17], v[46:47], s[14:15]
	s_waitcnt vmcnt(0)
	v_mul_f64 v[48:49], v[12:13], v[46:47]
	v_cmp_nge_f64_e32 vcc, 0, v[12:13]
	v_cndmask_b32_e32 v13, v49, v13, vcc
	v_cndmask_b32_e32 v12, v48, v12, vcc
	v_cndmask_b32_e32 v47, v47, v42, vcc
	v_cndmask_b32_e64 v46, v46, 0, vcc
	global_store_dwordx2 v[44:45], v[12:13], off
	global_store_dwordx2 v[10:11], v[46:47], off
.LBB1_17:                               ;   in Loop: Header=BB1_5 Depth=1
	s_or_b64 exec, exec, s[2:3]
	v_add_u32_e32 v10, s6, v0
	v_cmp_gt_i32_e32 vcc, s7, v10
	s_and_saveexec_b64 s[2:3], vcc
	s_cbranch_execz .LBB1_19
; %bb.18:                               ;   in Loop: Header=BB1_5 Depth=1
	v_ashrrev_i32_e32 v11, 31, v10
	v_lshlrev_b64 v[10:11], 3, v[10:11]
	v_mov_b32_e32 v2, s11
	v_add_co_u32_e32 v12, vcc, s10, v10
	v_addc_co_u32_e32 v13, vcc, v2, v11, vcc
	global_load_dwordx2 v[12:13], v[12:13], off
	v_cvt_f32_u32_e32 v9, v3
	v_mov_b32_e32 v19, 0x2f800000
	v_mov_b32_e32 v3, s9
	v_add_co_u32_e32 v2, vcc, s8, v10
	v_addc_co_u32_e32 v3, vcc, v3, v11, vcc
	v_fmac_f32_e32 v19, 0x2f800000, v9
	v_mov_b32_e32 v43, s13
	v_add_co_u32_e32 v10, vcc, s12, v10
	v_cvt_f64_f32_e32 v[44:45], v19
	v_addc_co_u32_e32 v11, vcc, v43, v11, vcc
	v_fma_f64 v[44:45], v[16:17], v[44:45], s[14:15]
	s_waitcnt vmcnt(0)
	v_mul_f64 v[46:47], v[12:13], v[44:45]
	v_cmp_nge_f64_e32 vcc, 0, v[12:13]
	v_cndmask_b32_e32 v13, v47, v13, vcc
	v_cndmask_b32_e32 v12, v46, v12, vcc
	v_cndmask_b32_e32 v45, v45, v42, vcc
	v_cndmask_b32_e64 v44, v44, 0, vcc
	global_store_dwordx2 v[2:3], v[12:13], off
	global_store_dwordx2 v[10:11], v[44:45], off
.LBB1_19:                               ;   in Loop: Header=BB1_5 Depth=1
	;; [unrolled: 33-line block ×3, first 2 shown]
	s_or_b64 exec, exec, s[2:3]
	v_add_u32_e32 v2, s22, v0
	v_cmp_gt_i32_e32 vcc, s7, v2
	s_and_saveexec_b64 s[2:3], vcc
	s_cbranch_execz .LBB1_4
; %bb.22:                               ;   in Loop: Header=BB1_5 Depth=1
	v_ashrrev_i32_e32 v3, 31, v2
	v_lshlrev_b64 v[2:3], 3, v[2:3]
	v_mov_b32_e32 v4, s11
	v_add_co_u32_e32 v10, vcc, s10, v2
	v_addc_co_u32_e32 v11, vcc, v4, v3, vcc
	global_load_dwordx2 v[10:11], v[10:11], off
	v_cvt_f32_u32_e32 v9, v5
	v_mov_b32_e32 v5, s9
	v_add_co_u32_e32 v4, vcc, s8, v2
	v_mov_b32_e32 v12, 0x2f800000
	v_addc_co_u32_e32 v5, vcc, v5, v3, vcc
	v_mov_b32_e32 v13, s13
	v_add_co_u32_e32 v2, vcc, s12, v2
	v_fmac_f32_e32 v12, 0x2f800000, v9
	v_addc_co_u32_e32 v3, vcc, v13, v3, vcc
	v_cvt_f64_f32_e32 v[12:13], v12
	v_fma_f64 v[12:13], v[16:17], v[12:13], s[14:15]
	s_waitcnt vmcnt(0)
	v_mul_f64 v[44:45], v[10:11], v[12:13]
	v_cmp_nge_f64_e32 vcc, 0, v[10:11]
	v_cndmask_b32_e32 v11, v45, v11, vcc
	v_cndmask_b32_e32 v10, v44, v10, vcc
	;; [unrolled: 1-line block ×3, first 2 shown]
	v_cndmask_b32_e64 v12, v12, 0, vcc
	global_store_dwordx2 v[4:5], v[10:11], off
	global_store_dwordx2 v[2:3], v[12:13], off
	s_branch .LBB1_4
.LBB1_23:
	s_endpgm
	.section	.rodata,"a",@progbits
	.p2align	6, 0x0
	.amdhsa_kernel _ZN2at6native28rrelu_with_noise_cuda_kernelIdLi4EZNS0_28_rrelu_with_noise_cuda_trainIdEEvRNS_6TensorERKS3_S4_RKN3c106ScalarESA_St8optionalINS_9GeneratorEEEUlP25hiprandStatePhilox4_32_10E0_EEviNS_15PhiloxCudaStateEPT_PKSI_SJ_ddRKT1_
		.amdhsa_group_segment_fixed_size 0
		.amdhsa_private_segment_fixed_size 0
		.amdhsa_kernarg_size 344
		.amdhsa_user_sgpr_count 6
		.amdhsa_user_sgpr_private_segment_buffer 1
		.amdhsa_user_sgpr_dispatch_ptr 0
		.amdhsa_user_sgpr_queue_ptr 0
		.amdhsa_user_sgpr_kernarg_segment_ptr 1
		.amdhsa_user_sgpr_dispatch_id 0
		.amdhsa_user_sgpr_flat_scratch_init 0
		.amdhsa_user_sgpr_kernarg_preload_length 0
		.amdhsa_user_sgpr_kernarg_preload_offset 0
		.amdhsa_user_sgpr_private_segment_size 0
		.amdhsa_uses_dynamic_stack 0
		.amdhsa_system_sgpr_private_segment_wavefront_offset 0
		.amdhsa_system_sgpr_workgroup_id_x 1
		.amdhsa_system_sgpr_workgroup_id_y 0
		.amdhsa_system_sgpr_workgroup_id_z 0
		.amdhsa_system_sgpr_workgroup_info 0
		.amdhsa_system_vgpr_workitem_id 0
		.amdhsa_next_free_vgpr 50
		.amdhsa_next_free_sgpr 23
		.amdhsa_accum_offset 52
		.amdhsa_reserve_vcc 1
		.amdhsa_reserve_flat_scratch 0
		.amdhsa_float_round_mode_32 0
		.amdhsa_float_round_mode_16_64 0
		.amdhsa_float_denorm_mode_32 3
		.amdhsa_float_denorm_mode_16_64 3
		.amdhsa_dx10_clamp 1
		.amdhsa_ieee_mode 1
		.amdhsa_fp16_overflow 0
		.amdhsa_tg_split 0
		.amdhsa_exception_fp_ieee_invalid_op 0
		.amdhsa_exception_fp_denorm_src 0
		.amdhsa_exception_fp_ieee_div_zero 0
		.amdhsa_exception_fp_ieee_overflow 0
		.amdhsa_exception_fp_ieee_underflow 0
		.amdhsa_exception_fp_ieee_inexact 0
		.amdhsa_exception_int_div_zero 0
	.end_amdhsa_kernel
	.section	.text._ZN2at6native28rrelu_with_noise_cuda_kernelIdLi4EZNS0_28_rrelu_with_noise_cuda_trainIdEEvRNS_6TensorERKS3_S4_RKN3c106ScalarESA_St8optionalINS_9GeneratorEEEUlP25hiprandStatePhilox4_32_10E0_EEviNS_15PhiloxCudaStateEPT_PKSI_SJ_ddRKT1_,"axG",@progbits,_ZN2at6native28rrelu_with_noise_cuda_kernelIdLi4EZNS0_28_rrelu_with_noise_cuda_trainIdEEvRNS_6TensorERKS3_S4_RKN3c106ScalarESA_St8optionalINS_9GeneratorEEEUlP25hiprandStatePhilox4_32_10E0_EEviNS_15PhiloxCudaStateEPT_PKSI_SJ_ddRKT1_,comdat
.Lfunc_end1:
	.size	_ZN2at6native28rrelu_with_noise_cuda_kernelIdLi4EZNS0_28_rrelu_with_noise_cuda_trainIdEEvRNS_6TensorERKS3_S4_RKN3c106ScalarESA_St8optionalINS_9GeneratorEEEUlP25hiprandStatePhilox4_32_10E0_EEviNS_15PhiloxCudaStateEPT_PKSI_SJ_ddRKT1_, .Lfunc_end1-_ZN2at6native28rrelu_with_noise_cuda_kernelIdLi4EZNS0_28_rrelu_with_noise_cuda_trainIdEEvRNS_6TensorERKS3_S4_RKN3c106ScalarESA_St8optionalINS_9GeneratorEEEUlP25hiprandStatePhilox4_32_10E0_EEviNS_15PhiloxCudaStateEPT_PKSI_SJ_ddRKT1_
                                        ; -- End function
	.section	.AMDGPU.csdata,"",@progbits
; Kernel info:
; codeLenInByte = 2128
; NumSgprs: 27
; NumVgprs: 50
; NumAgprs: 0
; TotalNumVgprs: 50
; ScratchSize: 0
; MemoryBound: 0
; FloatMode: 240
; IeeeMode: 1
; LDSByteSize: 0 bytes/workgroup (compile time only)
; SGPRBlocks: 3
; VGPRBlocks: 6
; NumSGPRsForWavesPerEU: 27
; NumVGPRsForWavesPerEU: 50
; AccumOffset: 52
; Occupancy: 8
; WaveLimiterHint : 0
; COMPUTE_PGM_RSRC2:SCRATCH_EN: 0
; COMPUTE_PGM_RSRC2:USER_SGPR: 6
; COMPUTE_PGM_RSRC2:TRAP_HANDLER: 0
; COMPUTE_PGM_RSRC2:TGID_X_EN: 1
; COMPUTE_PGM_RSRC2:TGID_Y_EN: 0
; COMPUTE_PGM_RSRC2:TGID_Z_EN: 0
; COMPUTE_PGM_RSRC2:TIDIG_COMP_CNT: 0
; COMPUTE_PGM_RSRC3_GFX90A:ACCUM_OFFSET: 12
; COMPUTE_PGM_RSRC3_GFX90A:TG_SPLIT: 0
	.section	.text._ZN2at6native28rrelu_with_noise_cuda_kernelIfLi2EZNS0_28_rrelu_with_noise_cuda_trainIfEEvRNS_6TensorERKS3_S4_RKN3c106ScalarESA_St8optionalINS_9GeneratorEEEUlP25hiprandStatePhilox4_32_10E_EEviNS_15PhiloxCudaStateEPT_PKSI_SJ_ddRKT1_,"axG",@progbits,_ZN2at6native28rrelu_with_noise_cuda_kernelIfLi2EZNS0_28_rrelu_with_noise_cuda_trainIfEEvRNS_6TensorERKS3_S4_RKN3c106ScalarESA_St8optionalINS_9GeneratorEEEUlP25hiprandStatePhilox4_32_10E_EEviNS_15PhiloxCudaStateEPT_PKSI_SJ_ddRKT1_,comdat
	.protected	_ZN2at6native28rrelu_with_noise_cuda_kernelIfLi2EZNS0_28_rrelu_with_noise_cuda_trainIfEEvRNS_6TensorERKS3_S4_RKN3c106ScalarESA_St8optionalINS_9GeneratorEEEUlP25hiprandStatePhilox4_32_10E_EEviNS_15PhiloxCudaStateEPT_PKSI_SJ_ddRKT1_ ; -- Begin function _ZN2at6native28rrelu_with_noise_cuda_kernelIfLi2EZNS0_28_rrelu_with_noise_cuda_trainIfEEvRNS_6TensorERKS3_S4_RKN3c106ScalarESA_St8optionalINS_9GeneratorEEEUlP25hiprandStatePhilox4_32_10E_EEviNS_15PhiloxCudaStateEPT_PKSI_SJ_ddRKT1_
	.globl	_ZN2at6native28rrelu_with_noise_cuda_kernelIfLi2EZNS0_28_rrelu_with_noise_cuda_trainIfEEvRNS_6TensorERKS3_S4_RKN3c106ScalarESA_St8optionalINS_9GeneratorEEEUlP25hiprandStatePhilox4_32_10E_EEviNS_15PhiloxCudaStateEPT_PKSI_SJ_ddRKT1_
	.p2align	8
	.type	_ZN2at6native28rrelu_with_noise_cuda_kernelIfLi2EZNS0_28_rrelu_with_noise_cuda_trainIfEEvRNS_6TensorERKS3_S4_RKN3c106ScalarESA_St8optionalINS_9GeneratorEEEUlP25hiprandStatePhilox4_32_10E_EEviNS_15PhiloxCudaStateEPT_PKSI_SJ_ddRKT1_,@function
_ZN2at6native28rrelu_with_noise_cuda_kernelIfLi2EZNS0_28_rrelu_with_noise_cuda_trainIfEEvRNS_6TensorERKS3_S4_RKN3c106ScalarESA_St8optionalINS_9GeneratorEEEUlP25hiprandStatePhilox4_32_10E_EEviNS_15PhiloxCudaStateEPT_PKSI_SJ_ddRKT1_: ; @_ZN2at6native28rrelu_with_noise_cuda_kernelIfLi2EZNS0_28_rrelu_with_noise_cuda_trainIfEEvRNS_6TensorERKS3_S4_RKN3c106ScalarESA_St8optionalINS_9GeneratorEEEUlP25hiprandStatePhilox4_32_10E_EEviNS_15PhiloxCudaStateEPT_PKSI_SJ_ddRKT1_
; %bb.0:
	s_load_dword s7, s[4:5], 0x20
	s_load_dwordx4 s[0:3], s[4:5], 0x8
	s_waitcnt lgkmcnt(0)
	s_bitcmp0_b32 s7, 0
	v_pk_mov_b32 v[2:3], s[2:3], s[2:3] op_sel:[0,1]
	v_pk_mov_b32 v[14:15], s[0:1], s[0:1] op_sel:[0,1]
	s_cbranch_scc1 .LBB2_2
; %bb.1:
	v_pk_mov_b32 v[2:3], s[2:3], s[2:3] op_sel:[0,1]
	flat_load_dwordx2 v[2:3], v[2:3]
	v_pk_mov_b32 v[4:5], s[0:1], s[0:1] op_sel:[0,1]
	flat_load_dwordx2 v[14:15], v[4:5]
	s_load_dwordx2 s[0:1], s[4:5], 0x18
	s_waitcnt lgkmcnt(0)
	v_mov_b32_e32 v1, s1
	s_waitcnt vmcnt(0)
	v_add_co_u32_e32 v2, vcc, s0, v2
	v_addc_co_u32_e32 v3, vcc, v3, v1, vcc
.LBB2_2:
	s_load_dword s1, s[4:5], 0x64
	s_load_dword s0, s[4:5], 0x58
	;; [unrolled: 1-line block ×3, first 2 shown]
	s_waitcnt lgkmcnt(0)
	s_and_b32 s1, s1, 0xffff
	s_mul_i32 s2, s0, s1
	s_lshl_b32 s16, s2, 1
	s_abs_i32 s2, s16
	v_cvt_f32_u32_e32 v1, s2
	s_sub_i32 s9, 0, s2
	s_add_i32 s3, s7, -1
	s_abs_i32 s8, s3
	v_rcp_iflag_f32_e32 v4, v1
	s_xor_b32 s3, s3, s16
	s_ashr_i32 s3, s3, 31
	s_mul_i32 s17, s6, s1
	v_mul_f32_e32 v4, 0x4f7ffffe, v4
	v_cvt_u32_f32_e32 v4, v4
	v_add_u32_e32 v1, s17, v0
	v_readfirstlane_b32 s10, v4
	s_mul_i32 s9, s9, s10
	s_mul_hi_u32 s9, s10, s9
	s_add_i32 s10, s10, s9
	s_mul_hi_u32 s9, s8, s10
	s_mul_i32 s10, s9, s2
	s_sub_i32 s8, s8, s10
	s_add_i32 s11, s9, 1
	s_sub_i32 s10, s8, s2
	s_cmp_ge_u32 s8, s2
	s_cselect_b32 s9, s11, s9
	s_cselect_b32 s8, s10, s8
	s_add_i32 s10, s9, 1
	s_cmp_ge_u32 s8, s2
	s_cselect_b32 s2, s10, s9
	s_xor_b32 s2, s2, s3
	s_sub_i32 s2, s2, s3
	s_add_i32 s2, s2, 1
	s_mul_i32 s18, s16, s2
	v_cmp_gt_i32_e32 vcc, s18, v1
	s_and_saveexec_b64 s[2:3], vcc
	s_cbranch_execz .LBB2_23
; %bb.3:
	s_load_dwordx8 s[8:15], s[4:5], 0x28
	s_load_dwordx2 s[2:3], s[4:5], 0x48
	v_mov_b32_e32 v4, v15
	v_alignbit_b32 v31, v3, v2, 2
	s_mov_b32 s19, 0xd2511f53
	s_waitcnt lgkmcnt(0)
	v_pk_mov_b32 v[6:7], s[14:15], s[14:15] op_sel:[0,1]
	v_add_f64 v[16:17], s[2:3], -v[6:7]
	s_mov_b32 s2, 0xdb3d7428
	v_add_co_u32_e32 v23, vcc, s2, v4
	s_mov_b32 s2, 0x5384540f
	v_add_co_u32_e32 v24, vcc, s2, v14
	;; [unrolled: 2-line block ×8, first 2 shown]
	v_mad_u64_u32 v[6:7], s[2:3], v31, s19, 0
	v_and_b32_e32 v20, 3, v2
	v_xor_b32_e32 v2, v7, v15
	v_ashrrev_i32_e32 v32, 31, v1
	v_xor_b32_e32 v2, v2, v32
	s_mov_b32 s20, 0xcd9e8d57
	v_mad_u64_u32 v[8:9], s[2:3], v2, s20, 0
	v_xor_b32_e32 v2, v30, v9
	v_mad_u64_u32 v[10:11], s[2:3], v1, s20, 0
	v_xor_b32_e32 v2, v2, v10
	;; [unrolled: 2-line block ×3, first 2 shown]
	v_lshrrev_b32_e32 v33, 2, v3
	v_xor_b32_e32 v2, v2, v33
	v_xor_b32_e32 v5, v29, v13
	v_mad_u64_u32 v[2:3], s[2:3], v2, s19, 0
	v_xor_b32_e32 v2, v5, v2
	v_mad_u64_u32 v[10:11], s[2:3], v2, s20, 0
	s_mov_b32 s2, 0xbb67ae85
	v_add_co_u32_e32 v34, vcc, s2, v4
	v_xor_b32_e32 v2, v34, v3
	v_xor_b32_e32 v2, v2, v6
	v_xor_b32_e32 v5, v28, v11
	v_mad_u64_u32 v[2:3], s[2:3], v2, s20, 0
	v_xor_b32_e32 v2, v5, v2
	v_mad_u64_u32 v[6:7], s[2:3], v2, s19, 0
	s_mov_b32 s2, 0x3c6ef372
	v_add_co_u32_e32 v35, vcc, s2, v14
	v_xor_b32_e32 v2, v35, v3
	;; [unrolled: 8-line block ×7, first 2 shown]
	v_xor_b32_e32 v2, v2, v12
	v_mad_u64_u32 v[2:3], s[2:3], v2, s20, 0
	s_mov_b32 s2, 0xf1bbcdc8
	v_add_co_u32_e32 v41, vcc, s2, v14
	v_xor_b32_e32 v3, v41, v3
	v_xor_b32_e32 v3, v3, v10
	v_mad_u64_u32 v[10:11], s[2:3], v3, s19, 0
	v_add_u32_e32 v21, 0x8ff34781, v14
	v_add_u32_e32 v22, 0x96a522ad, v15
	v_xor_b32_e32 v2, v9, v2
	v_xor_b32_e32 v3, v11, v6
	s_add_i32 s6, s6, s0
	v_xor_b32_e32 v2, v21, v2
	v_xor_b32_e32 v4, v22, v3
	v_mov_b32_e32 v3, v8
	v_mov_b32_e32 v5, v10
	s_mul_i32 s6, s6, s1
	s_mov_b64 s[0:1], 0
	s_branch .LBB2_6
.LBB2_4:                                ;   in Loop: Header=BB2_6 Depth=1
	s_or_b64 exec, exec, s[4:5]
	v_mov_b32_e32 v5, s9
	v_add_co_u32_e32 v4, vcc, s8, v2
	v_addc_co_u32_e32 v5, vcc, v5, v3, vcc
	global_store_dword v[4:5], v9, off
	v_mov_b32_e32 v4, s13
	v_add_co_u32_e32 v2, vcc, s12, v2
	v_addc_co_u32_e32 v3, vcc, v4, v3, vcc
	global_store_dword v[2:3], v10, off
.LBB2_5:                                ;   in Loop: Header=BB2_6 Depth=1
	s_or_b64 exec, exec, s[2:3]
	v_add_u32_e32 v0, s16, v0
	v_add_u32_e32 v2, s17, v0
	v_mov_b32_e32 v9, v18
	v_cmp_le_i32_e32 vcc, s18, v2
	v_pk_mov_b32 v[2:3], v[6:7], v[6:7] op_sel:[0,1]
	s_or_b64 s[0:1], vcc, s[0:1]
	v_pk_mov_b32 v[4:5], v[8:9], v[8:9] op_sel:[0,1]
	s_barrier
	s_andn2_b64 exec, exec, s[0:1]
	s_cbranch_execz .LBB2_23
.LBB2_6:                                ; =>This Inner Loop Header: Depth=1
	v_add_co_u32_e32 v31, vcc, 1, v31
	v_cndmask_b32_e64 v6, 0, 1, vcc
	v_addc_co_u32_e32 v33, vcc, 0, v33, vcc
	v_cmp_eq_u32_e32 vcc, 0, v33
	v_cndmask_b32_e32 v6, 0, v6, vcc
	v_add_u32_e32 v1, v6, v1
	v_cmp_eq_u32_e32 vcc, 0, v1
	v_cndmask_b32_e32 v6, 0, v6, vcc
	v_add_u32_e32 v32, v6, v32
	v_mad_u64_u32 v[6:7], s[2:3], v31, s19, 0
	v_mad_u64_u32 v[8:9], s[2:3], v1, s20, 0
	v_xor_b32_e32 v7, v7, v15
	v_xor_b32_e32 v9, v9, v14
	v_xor_b32_e32 v7, v32, v7
	v_xor_b32_e32 v9, v33, v9
	v_mad_u64_u32 v[12:13], s[2:3], v7, s20, 0
	v_mad_u64_u32 v[10:11], s[2:3], v9, s19, 0
	v_xor_b32_e32 v7, v30, v13
	v_xor_b32_e32 v7, v7, v8
	v_xor_b32_e32 v8, v34, v11
	v_xor_b32_e32 v8, v8, v6
	;; [unrolled: 6-line block ×10, first 2 shown]
	v_mov_b32_e32 v7, v12
	v_mov_b32_e32 v8, v13
	v_cmp_lt_i32_e32 vcc, 1, v20
	s_and_saveexec_b64 s[2:3], vcc
	s_xor_b64 s[2:3], exec, s[2:3]
	s_cbranch_execz .LBB2_12
; %bb.7:                                ;   in Loop: Header=BB2_6 Depth=1
	v_cmp_lt_i32_e32 vcc, 2, v20
	s_and_saveexec_b64 s[4:5], vcc
	s_xor_b64 s[4:5], exec, s[4:5]
; %bb.8:                                ;   in Loop: Header=BB2_6 Depth=1
	v_mov_b32_e32 v10, v5
	v_mov_b32_e32 v11, v6
	v_pk_mov_b32 v[2:3], v[10:11], v[10:11] op_sel:[0,1]
	v_pk_mov_b32 v[4:5], v[12:13], v[12:13] op_sel:[0,1]
                                        ; implicit-def: $vgpr12_vgpr13
; %bb.9:                                ;   in Loop: Header=BB2_6 Depth=1
	s_andn2_saveexec_b64 s[4:5], s[4:5]
; %bb.10:                               ;   in Loop: Header=BB2_6 Depth=1
	v_mov_b32_e32 v2, v4
	v_mov_b32_e32 v3, v5
	;; [unrolled: 1-line block ×4, first 2 shown]
; %bb.11:                               ;   in Loop: Header=BB2_6 Depth=1
	s_or_b64 exec, exec, s[4:5]
.LBB2_12:                               ;   in Loop: Header=BB2_6 Depth=1
	s_andn2_saveexec_b64 s[2:3], s[2:3]
	s_cbranch_execz .LBB2_16
; %bb.13:                               ;   in Loop: Header=BB2_6 Depth=1
	v_cmp_eq_u32_e32 vcc, 1, v20
	s_and_saveexec_b64 s[4:5], vcc
; %bb.14:                               ;   in Loop: Header=BB2_6 Depth=1
	v_mov_b32_e32 v2, v3
	v_mov_b32_e32 v3, v4
	v_mov_b32_e32 v4, v5
	v_mov_b32_e32 v5, v6
; %bb.15:                               ;   in Loop: Header=BB2_6 Depth=1
	s_or_b64 exec, exec, s[4:5]
.LBB2_16:                               ;   in Loop: Header=BB2_6 Depth=1
	s_or_b64 exec, exec, s[2:3]
	v_add_u32_e32 v10, s17, v0
	v_cmp_gt_i32_e32 vcc, s7, v10
	s_and_saveexec_b64 s[2:3], vcc
	s_cbranch_execz .LBB2_20
; %bb.17:                               ;   in Loop: Header=BB2_6 Depth=1
	v_ashrrev_i32_e32 v11, 31, v10
	v_lshlrev_b64 v[10:11], 2, v[10:11]
	v_mov_b32_e32 v9, s11
	v_add_co_u32_e32 v12, vcc, s10, v10
	v_addc_co_u32_e32 v13, vcc, v9, v11, vcc
	global_load_dword v9, v[12:13], off
	v_mov_b32_e32 v12, 1.0
	s_waitcnt vmcnt(0)
	v_cmp_ge_f32_e32 vcc, 0, v9
	s_and_saveexec_b64 s[4:5], vcc
	s_cbranch_execz .LBB2_19
; %bb.18:                               ;   in Loop: Header=BB2_6 Depth=1
	v_lshrrev_b32_e32 v3, 11, v3
	v_cvt_f64_u32_e32 v[12:13], v3
	v_ldexp_f64 v[12:13], v[12:13], 32
	v_cvt_f64_u32_e32 v[2:3], v2
	v_add_f64 v[2:3], v[12:13], v[2:3]
	v_mov_b32_e32 v12, 0
	v_mov_b32_e32 v13, 0x3ca00000
	v_fmac_f64_e32 v[12:13], 0x3ca00000, v[2:3]
	v_cvt_f32_f64_e32 v2, v[12:13]
	v_cvt_f64_f32_e32 v[2:3], v2
	v_fma_f64 v[2:3], v[16:17], v[2:3], s[14:15]
	v_cvt_f32_f64_e32 v12, v[2:3]
	v_mul_f32_e32 v9, v9, v12
.LBB2_19:                               ;   in Loop: Header=BB2_6 Depth=1
	s_or_b64 exec, exec, s[4:5]
	v_mov_b32_e32 v3, s9
	v_add_co_u32_e32 v2, vcc, s8, v10
	v_addc_co_u32_e32 v3, vcc, v3, v11, vcc
	global_store_dword v[2:3], v9, off
	v_mov_b32_e32 v3, s13
	v_add_co_u32_e32 v2, vcc, s12, v10
	v_addc_co_u32_e32 v3, vcc, v3, v11, vcc
	global_store_dword v[2:3], v12, off
.LBB2_20:                               ;   in Loop: Header=BB2_6 Depth=1
	s_or_b64 exec, exec, s[2:3]
	v_add_u32_e32 v2, s6, v0
	v_cmp_gt_i32_e32 vcc, s7, v2
	s_and_saveexec_b64 s[2:3], vcc
	s_cbranch_execz .LBB2_5
; %bb.21:                               ;   in Loop: Header=BB2_6 Depth=1
	v_ashrrev_i32_e32 v3, 31, v2
	v_lshlrev_b64 v[2:3], 2, v[2:3]
	v_mov_b32_e32 v9, s11
	v_add_co_u32_e32 v10, vcc, s10, v2
	v_addc_co_u32_e32 v11, vcc, v9, v3, vcc
	global_load_dword v9, v[10:11], off
	v_mov_b32_e32 v10, 1.0
	s_waitcnt vmcnt(0)
	v_cmp_ge_f32_e32 vcc, 0, v9
	s_and_saveexec_b64 s[4:5], vcc
	s_cbranch_execz .LBB2_4
; %bb.22:                               ;   in Loop: Header=BB2_6 Depth=1
	v_lshrrev_b32_e32 v5, 11, v5
	v_cvt_f64_u32_e32 v[10:11], v5
	v_ldexp_f64 v[10:11], v[10:11], 32
	v_cvt_f64_u32_e32 v[4:5], v4
	v_add_f64 v[4:5], v[10:11], v[4:5]
	v_mov_b32_e32 v10, 0
	v_mov_b32_e32 v11, 0x3ca00000
	v_fmac_f64_e32 v[10:11], 0x3ca00000, v[4:5]
	v_cvt_f32_f64_e32 v4, v[10:11]
	v_cvt_f64_f32_e32 v[4:5], v4
	v_fma_f64 v[4:5], v[16:17], v[4:5], s[14:15]
	v_cvt_f32_f64_e32 v10, v[4:5]
	v_mul_f32_e32 v9, v9, v10
	s_branch .LBB2_4
.LBB2_23:
	s_endpgm
	.section	.rodata,"a",@progbits
	.p2align	6, 0x0
	.amdhsa_kernel _ZN2at6native28rrelu_with_noise_cuda_kernelIfLi2EZNS0_28_rrelu_with_noise_cuda_trainIfEEvRNS_6TensorERKS3_S4_RKN3c106ScalarESA_St8optionalINS_9GeneratorEEEUlP25hiprandStatePhilox4_32_10E_EEviNS_15PhiloxCudaStateEPT_PKSI_SJ_ddRKT1_
		.amdhsa_group_segment_fixed_size 0
		.amdhsa_private_segment_fixed_size 0
		.amdhsa_kernarg_size 344
		.amdhsa_user_sgpr_count 6
		.amdhsa_user_sgpr_private_segment_buffer 1
		.amdhsa_user_sgpr_dispatch_ptr 0
		.amdhsa_user_sgpr_queue_ptr 0
		.amdhsa_user_sgpr_kernarg_segment_ptr 1
		.amdhsa_user_sgpr_dispatch_id 0
		.amdhsa_user_sgpr_flat_scratch_init 0
		.amdhsa_user_sgpr_kernarg_preload_length 0
		.amdhsa_user_sgpr_kernarg_preload_offset 0
		.amdhsa_user_sgpr_private_segment_size 0
		.amdhsa_uses_dynamic_stack 0
		.amdhsa_system_sgpr_private_segment_wavefront_offset 0
		.amdhsa_system_sgpr_workgroup_id_x 1
		.amdhsa_system_sgpr_workgroup_id_y 0
		.amdhsa_system_sgpr_workgroup_id_z 0
		.amdhsa_system_sgpr_workgroup_info 0
		.amdhsa_system_vgpr_workitem_id 0
		.amdhsa_next_free_vgpr 42
		.amdhsa_next_free_sgpr 21
		.amdhsa_accum_offset 44
		.amdhsa_reserve_vcc 1
		.amdhsa_reserve_flat_scratch 0
		.amdhsa_float_round_mode_32 0
		.amdhsa_float_round_mode_16_64 0
		.amdhsa_float_denorm_mode_32 3
		.amdhsa_float_denorm_mode_16_64 3
		.amdhsa_dx10_clamp 1
		.amdhsa_ieee_mode 1
		.amdhsa_fp16_overflow 0
		.amdhsa_tg_split 0
		.amdhsa_exception_fp_ieee_invalid_op 0
		.amdhsa_exception_fp_denorm_src 0
		.amdhsa_exception_fp_ieee_div_zero 0
		.amdhsa_exception_fp_ieee_overflow 0
		.amdhsa_exception_fp_ieee_underflow 0
		.amdhsa_exception_fp_ieee_inexact 0
		.amdhsa_exception_int_div_zero 0
	.end_amdhsa_kernel
	.section	.text._ZN2at6native28rrelu_with_noise_cuda_kernelIfLi2EZNS0_28_rrelu_with_noise_cuda_trainIfEEvRNS_6TensorERKS3_S4_RKN3c106ScalarESA_St8optionalINS_9GeneratorEEEUlP25hiprandStatePhilox4_32_10E_EEviNS_15PhiloxCudaStateEPT_PKSI_SJ_ddRKT1_,"axG",@progbits,_ZN2at6native28rrelu_with_noise_cuda_kernelIfLi2EZNS0_28_rrelu_with_noise_cuda_trainIfEEvRNS_6TensorERKS3_S4_RKN3c106ScalarESA_St8optionalINS_9GeneratorEEEUlP25hiprandStatePhilox4_32_10E_EEviNS_15PhiloxCudaStateEPT_PKSI_SJ_ddRKT1_,comdat
.Lfunc_end2:
	.size	_ZN2at6native28rrelu_with_noise_cuda_kernelIfLi2EZNS0_28_rrelu_with_noise_cuda_trainIfEEvRNS_6TensorERKS3_S4_RKN3c106ScalarESA_St8optionalINS_9GeneratorEEEUlP25hiprandStatePhilox4_32_10E_EEviNS_15PhiloxCudaStateEPT_PKSI_SJ_ddRKT1_, .Lfunc_end2-_ZN2at6native28rrelu_with_noise_cuda_kernelIfLi2EZNS0_28_rrelu_with_noise_cuda_trainIfEEvRNS_6TensorERKS3_S4_RKN3c106ScalarESA_St8optionalINS_9GeneratorEEEUlP25hiprandStatePhilox4_32_10E_EEviNS_15PhiloxCudaStateEPT_PKSI_SJ_ddRKT1_
                                        ; -- End function
	.section	.AMDGPU.csdata,"",@progbits
; Kernel info:
; codeLenInByte = 1832
; NumSgprs: 25
; NumVgprs: 42
; NumAgprs: 0
; TotalNumVgprs: 42
; ScratchSize: 0
; MemoryBound: 0
; FloatMode: 240
; IeeeMode: 1
; LDSByteSize: 0 bytes/workgroup (compile time only)
; SGPRBlocks: 3
; VGPRBlocks: 5
; NumSGPRsForWavesPerEU: 25
; NumVGPRsForWavesPerEU: 42
; AccumOffset: 44
; Occupancy: 8
; WaveLimiterHint : 0
; COMPUTE_PGM_RSRC2:SCRATCH_EN: 0
; COMPUTE_PGM_RSRC2:USER_SGPR: 6
; COMPUTE_PGM_RSRC2:TRAP_HANDLER: 0
; COMPUTE_PGM_RSRC2:TGID_X_EN: 1
; COMPUTE_PGM_RSRC2:TGID_Y_EN: 0
; COMPUTE_PGM_RSRC2:TGID_Z_EN: 0
; COMPUTE_PGM_RSRC2:TIDIG_COMP_CNT: 0
; COMPUTE_PGM_RSRC3_GFX90A:ACCUM_OFFSET: 10
; COMPUTE_PGM_RSRC3_GFX90A:TG_SPLIT: 0
	.section	.text._ZN2at6native28rrelu_with_noise_cuda_kernelIfLi4EZNS0_28_rrelu_with_noise_cuda_trainIfEEvRNS_6TensorERKS3_S4_RKN3c106ScalarESA_St8optionalINS_9GeneratorEEEUlP25hiprandStatePhilox4_32_10E0_EEviNS_15PhiloxCudaStateEPT_PKSI_SJ_ddRKT1_,"axG",@progbits,_ZN2at6native28rrelu_with_noise_cuda_kernelIfLi4EZNS0_28_rrelu_with_noise_cuda_trainIfEEvRNS_6TensorERKS3_S4_RKN3c106ScalarESA_St8optionalINS_9GeneratorEEEUlP25hiprandStatePhilox4_32_10E0_EEviNS_15PhiloxCudaStateEPT_PKSI_SJ_ddRKT1_,comdat
	.protected	_ZN2at6native28rrelu_with_noise_cuda_kernelIfLi4EZNS0_28_rrelu_with_noise_cuda_trainIfEEvRNS_6TensorERKS3_S4_RKN3c106ScalarESA_St8optionalINS_9GeneratorEEEUlP25hiprandStatePhilox4_32_10E0_EEviNS_15PhiloxCudaStateEPT_PKSI_SJ_ddRKT1_ ; -- Begin function _ZN2at6native28rrelu_with_noise_cuda_kernelIfLi4EZNS0_28_rrelu_with_noise_cuda_trainIfEEvRNS_6TensorERKS3_S4_RKN3c106ScalarESA_St8optionalINS_9GeneratorEEEUlP25hiprandStatePhilox4_32_10E0_EEviNS_15PhiloxCudaStateEPT_PKSI_SJ_ddRKT1_
	.globl	_ZN2at6native28rrelu_with_noise_cuda_kernelIfLi4EZNS0_28_rrelu_with_noise_cuda_trainIfEEvRNS_6TensorERKS3_S4_RKN3c106ScalarESA_St8optionalINS_9GeneratorEEEUlP25hiprandStatePhilox4_32_10E0_EEviNS_15PhiloxCudaStateEPT_PKSI_SJ_ddRKT1_
	.p2align	8
	.type	_ZN2at6native28rrelu_with_noise_cuda_kernelIfLi4EZNS0_28_rrelu_with_noise_cuda_trainIfEEvRNS_6TensorERKS3_S4_RKN3c106ScalarESA_St8optionalINS_9GeneratorEEEUlP25hiprandStatePhilox4_32_10E0_EEviNS_15PhiloxCudaStateEPT_PKSI_SJ_ddRKT1_,@function
_ZN2at6native28rrelu_with_noise_cuda_kernelIfLi4EZNS0_28_rrelu_with_noise_cuda_trainIfEEvRNS_6TensorERKS3_S4_RKN3c106ScalarESA_St8optionalINS_9GeneratorEEEUlP25hiprandStatePhilox4_32_10E0_EEviNS_15PhiloxCudaStateEPT_PKSI_SJ_ddRKT1_: ; @_ZN2at6native28rrelu_with_noise_cuda_kernelIfLi4EZNS0_28_rrelu_with_noise_cuda_trainIfEEvRNS_6TensorERKS3_S4_RKN3c106ScalarESA_St8optionalINS_9GeneratorEEEUlP25hiprandStatePhilox4_32_10E0_EEviNS_15PhiloxCudaStateEPT_PKSI_SJ_ddRKT1_
; %bb.0:
	s_load_dword s7, s[4:5], 0x20
	s_load_dwordx4 s[0:3], s[4:5], 0x8
	s_waitcnt lgkmcnt(0)
	s_bitcmp0_b32 s7, 0
	v_pk_mov_b32 v[2:3], s[2:3], s[2:3] op_sel:[0,1]
	v_pk_mov_b32 v[14:15], s[0:1], s[0:1] op_sel:[0,1]
	s_cbranch_scc1 .LBB3_2
; %bb.1:
	v_pk_mov_b32 v[2:3], s[2:3], s[2:3] op_sel:[0,1]
	flat_load_dwordx2 v[2:3], v[2:3]
	v_pk_mov_b32 v[4:5], s[0:1], s[0:1] op_sel:[0,1]
	flat_load_dwordx2 v[14:15], v[4:5]
	s_load_dwordx2 s[0:1], s[4:5], 0x18
	s_waitcnt lgkmcnt(0)
	v_mov_b32_e32 v1, s1
	s_waitcnt vmcnt(0)
	v_add_co_u32_e32 v2, vcc, s0, v2
	v_addc_co_u32_e32 v3, vcc, v3, v1, vcc
.LBB3_2:
	s_load_dword s1, s[4:5], 0x64
	s_load_dword s0, s[4:5], 0x58
	s_load_dword s7, s[4:5], 0x0
	s_waitcnt lgkmcnt(0)
	s_and_b32 s1, s1, 0xffff
	s_mul_i32 s2, s0, s1
	s_lshl_b32 s16, s2, 2
	s_abs_i32 s2, s16
	v_cvt_f32_u32_e32 v1, s2
	s_sub_i32 s9, 0, s2
	s_add_i32 s3, s7, -1
	s_abs_i32 s8, s3
	v_rcp_iflag_f32_e32 v4, v1
	s_xor_b32 s3, s3, s16
	s_ashr_i32 s3, s3, 31
	s_mul_i32 s17, s6, s1
	v_mul_f32_e32 v4, 0x4f7ffffe, v4
	v_cvt_u32_f32_e32 v4, v4
	v_add_u32_e32 v1, s17, v0
	v_readfirstlane_b32 s10, v4
	s_mul_i32 s9, s9, s10
	s_mul_hi_u32 s9, s10, s9
	s_add_i32 s10, s10, s9
	s_mul_hi_u32 s9, s8, s10
	s_mul_i32 s10, s9, s2
	s_sub_i32 s8, s8, s10
	s_add_i32 s11, s9, 1
	s_sub_i32 s10, s8, s2
	s_cmp_ge_u32 s8, s2
	s_cselect_b32 s9, s11, s9
	s_cselect_b32 s8, s10, s8
	s_add_i32 s10, s9, 1
	s_cmp_ge_u32 s8, s2
	s_cselect_b32 s2, s10, s9
	s_xor_b32 s2, s2, s3
	s_sub_i32 s2, s2, s3
	s_add_i32 s2, s2, 1
	s_mul_i32 s18, s16, s2
	v_cmp_gt_i32_e32 vcc, s18, v1
	s_and_saveexec_b64 s[2:3], vcc
	s_cbranch_execz .LBB3_23
; %bb.3:
	s_load_dwordx8 s[8:15], s[4:5], 0x28
	s_load_dwordx2 s[2:3], s[4:5], 0x48
	v_mov_b32_e32 v4, v15
	v_alignbit_b32 v31, v3, v2, 2
	s_mov_b32 s19, 0xd2511f53
	s_waitcnt lgkmcnt(0)
	v_pk_mov_b32 v[6:7], s[14:15], s[14:15] op_sel:[0,1]
	v_add_f64 v[16:17], s[2:3], -v[6:7]
	s_mov_b32 s2, 0xdb3d7428
	v_add_co_u32_e32 v23, vcc, s2, v4
	s_mov_b32 s2, 0x5384540f
	v_add_co_u32_e32 v24, vcc, s2, v14
	;; [unrolled: 2-line block ×8, first 2 shown]
	v_mad_u64_u32 v[6:7], s[2:3], v31, s19, 0
	v_and_b32_e32 v20, 3, v2
	v_xor_b32_e32 v2, v7, v15
	v_ashrrev_i32_e32 v32, 31, v1
	v_xor_b32_e32 v2, v2, v32
	s_mov_b32 s20, 0xcd9e8d57
	v_mad_u64_u32 v[8:9], s[2:3], v2, s20, 0
	v_xor_b32_e32 v2, v30, v9
	v_mad_u64_u32 v[10:11], s[2:3], v1, s20, 0
	v_xor_b32_e32 v2, v2, v10
	;; [unrolled: 2-line block ×3, first 2 shown]
	v_lshrrev_b32_e32 v33, 2, v3
	v_xor_b32_e32 v2, v2, v33
	v_xor_b32_e32 v5, v29, v13
	v_mad_u64_u32 v[2:3], s[2:3], v2, s19, 0
	v_xor_b32_e32 v2, v5, v2
	v_mad_u64_u32 v[10:11], s[2:3], v2, s20, 0
	s_mov_b32 s2, 0xbb67ae85
	v_add_co_u32_e32 v34, vcc, s2, v4
	v_xor_b32_e32 v2, v34, v3
	v_xor_b32_e32 v2, v2, v6
	v_xor_b32_e32 v5, v28, v11
	v_mad_u64_u32 v[2:3], s[2:3], v2, s20, 0
	v_xor_b32_e32 v2, v5, v2
	v_mad_u64_u32 v[6:7], s[2:3], v2, s19, 0
	s_mov_b32 s2, 0x3c6ef372
	v_add_co_u32_e32 v35, vcc, s2, v14
	v_xor_b32_e32 v2, v35, v3
	;; [unrolled: 8-line block ×7, first 2 shown]
	v_xor_b32_e32 v2, v2, v12
	v_mad_u64_u32 v[2:3], s[2:3], v2, s20, 0
	s_mov_b32 s2, 0xf1bbcdc8
	v_add_co_u32_e32 v41, vcc, s2, v14
	v_xor_b32_e32 v3, v41, v3
	v_xor_b32_e32 v3, v3, v10
	v_mad_u64_u32 v[10:11], s[2:3], v3, s19, 0
	s_lshl_b32 s2, s0, 1
	s_add_i32 s21, s6, s2
	s_mul_i32 s2, s0, 3
	v_add_u32_e32 v21, 0x8ff34781, v14
	v_add_u32_e32 v22, 0x96a522ad, v15
	v_xor_b32_e32 v2, v9, v2
	v_xor_b32_e32 v3, v11, v6
	s_add_i32 s22, s6, s2
	s_add_i32 s6, s6, s0
	v_xor_b32_e32 v2, v21, v2
	v_xor_b32_e32 v4, v22, v3
	v_mov_b32_e32 v3, v8
	v_mov_b32_e32 v5, v10
	s_mul_i32 s21, s21, s1
	s_mul_i32 s22, s22, s1
	;; [unrolled: 1-line block ×3, first 2 shown]
	s_mov_b64 s[0:1], 0
	s_branch .LBB3_5
.LBB3_4:                                ;   in Loop: Header=BB3_5 Depth=1
	s_or_b64 exec, exec, s[2:3]
	v_add_u32_e32 v0, s16, v0
	v_add_u32_e32 v2, s17, v0
	v_mov_b32_e32 v9, v18
	v_cmp_le_i32_e32 vcc, s18, v2
	v_pk_mov_b32 v[2:3], v[6:7], v[6:7] op_sel:[0,1]
	s_or_b64 s[0:1], vcc, s[0:1]
	v_pk_mov_b32 v[4:5], v[8:9], v[8:9] op_sel:[0,1]
	s_barrier
	s_andn2_b64 exec, exec, s[0:1]
	s_cbranch_execz .LBB3_23
.LBB3_5:                                ; =>This Inner Loop Header: Depth=1
	v_add_co_u32_e32 v31, vcc, 1, v31
	v_cndmask_b32_e64 v6, 0, 1, vcc
	v_addc_co_u32_e32 v33, vcc, 0, v33, vcc
	v_cmp_eq_u32_e32 vcc, 0, v33
	v_cndmask_b32_e32 v6, 0, v6, vcc
	v_add_u32_e32 v1, v6, v1
	v_cmp_eq_u32_e32 vcc, 0, v1
	v_cndmask_b32_e32 v6, 0, v6, vcc
	v_add_u32_e32 v32, v6, v32
	v_mad_u64_u32 v[6:7], s[2:3], v31, s19, 0
	v_mad_u64_u32 v[8:9], s[2:3], v1, s20, 0
	v_xor_b32_e32 v7, v7, v15
	v_xor_b32_e32 v9, v9, v14
	v_xor_b32_e32 v7, v32, v7
	v_xor_b32_e32 v9, v33, v9
	v_mad_u64_u32 v[12:13], s[2:3], v7, s20, 0
	v_mad_u64_u32 v[10:11], s[2:3], v9, s19, 0
	v_xor_b32_e32 v7, v30, v13
	v_xor_b32_e32 v7, v7, v8
	v_xor_b32_e32 v8, v34, v11
	v_xor_b32_e32 v8, v8, v6
	;; [unrolled: 6-line block ×10, first 2 shown]
	v_mov_b32_e32 v7, v12
	v_mov_b32_e32 v8, v13
	v_cmp_lt_i32_e32 vcc, 1, v20
	s_and_saveexec_b64 s[2:3], vcc
	s_xor_b64 s[2:3], exec, s[2:3]
	s_cbranch_execz .LBB3_11
; %bb.6:                                ;   in Loop: Header=BB3_5 Depth=1
	v_cmp_lt_i32_e32 vcc, 2, v20
	s_and_saveexec_b64 s[4:5], vcc
	s_xor_b64 s[4:5], exec, s[4:5]
; %bb.7:                                ;   in Loop: Header=BB3_5 Depth=1
	v_mov_b32_e32 v10, v5
	v_mov_b32_e32 v11, v6
	v_pk_mov_b32 v[2:3], v[10:11], v[10:11] op_sel:[0,1]
	v_pk_mov_b32 v[4:5], v[12:13], v[12:13] op_sel:[0,1]
                                        ; implicit-def: $vgpr12_vgpr13
; %bb.8:                                ;   in Loop: Header=BB3_5 Depth=1
	s_andn2_saveexec_b64 s[4:5], s[4:5]
; %bb.9:                                ;   in Loop: Header=BB3_5 Depth=1
	v_mov_b32_e32 v2, v4
	v_mov_b32_e32 v3, v5
	;; [unrolled: 1-line block ×4, first 2 shown]
; %bb.10:                               ;   in Loop: Header=BB3_5 Depth=1
	s_or_b64 exec, exec, s[4:5]
.LBB3_11:                               ;   in Loop: Header=BB3_5 Depth=1
	s_andn2_saveexec_b64 s[2:3], s[2:3]
	s_cbranch_execz .LBB3_15
; %bb.12:                               ;   in Loop: Header=BB3_5 Depth=1
	v_cmp_eq_u32_e32 vcc, 1, v20
	s_and_saveexec_b64 s[4:5], vcc
; %bb.13:                               ;   in Loop: Header=BB3_5 Depth=1
	v_mov_b32_e32 v2, v3
	v_mov_b32_e32 v3, v4
	;; [unrolled: 1-line block ×4, first 2 shown]
; %bb.14:                               ;   in Loop: Header=BB3_5 Depth=1
	s_or_b64 exec, exec, s[4:5]
.LBB3_15:                               ;   in Loop: Header=BB3_5 Depth=1
	s_or_b64 exec, exec, s[2:3]
	v_add_u32_e32 v10, s17, v0
	v_cmp_gt_i32_e32 vcc, s7, v10
	s_and_saveexec_b64 s[2:3], vcc
	s_cbranch_execz .LBB3_17
; %bb.16:                               ;   in Loop: Header=BB3_5 Depth=1
	v_ashrrev_i32_e32 v11, 31, v10
	v_lshlrev_b64 v[10:11], 2, v[10:11]
	v_mov_b32_e32 v9, s11
	v_add_co_u32_e32 v12, vcc, s10, v10
	v_addc_co_u32_e32 v13, vcc, v9, v11, vcc
	global_load_dword v9, v[12:13], off
	v_cvt_f32_u32_e32 v2, v2
	v_mov_b32_e32 v13, s9
	v_add_co_u32_e32 v12, vcc, s8, v10
	v_mov_b32_e32 v19, 0x2f800000
	v_addc_co_u32_e32 v13, vcc, v13, v11, vcc
	v_mov_b32_e32 v42, s13
	v_add_co_u32_e32 v10, vcc, s12, v10
	v_fmac_f32_e32 v19, 0x2f800000, v2
	v_addc_co_u32_e32 v11, vcc, v42, v11, vcc
	v_cvt_f64_f32_e32 v[42:43], v19
	v_fma_f64 v[42:43], v[16:17], v[42:43], s[14:15]
	v_cvt_f32_f64_e32 v2, v[42:43]
	s_waitcnt vmcnt(0)
	v_mul_f32_e32 v19, v9, v2
	v_cmp_nge_f32_e32 vcc, 0, v9
	v_cndmask_b32_e32 v9, v19, v9, vcc
	v_cndmask_b32_e64 v2, v2, 1.0, vcc
	global_store_dword v[12:13], v9, off
	global_store_dword v[10:11], v2, off
.LBB3_17:                               ;   in Loop: Header=BB3_5 Depth=1
	s_or_b64 exec, exec, s[2:3]
	v_add_u32_e32 v10, s6, v0
	v_cmp_gt_i32_e32 vcc, s7, v10
	s_and_saveexec_b64 s[2:3], vcc
	s_cbranch_execz .LBB3_19
; %bb.18:                               ;   in Loop: Header=BB3_5 Depth=1
	v_ashrrev_i32_e32 v11, 31, v10
	v_lshlrev_b64 v[10:11], 2, v[10:11]
	v_mov_b32_e32 v2, s11
	v_add_co_u32_e32 v12, vcc, s10, v10
	v_addc_co_u32_e32 v13, vcc, v2, v11, vcc
	global_load_dword v9, v[12:13], off
	v_cvt_f32_u32_e32 v12, v3
	v_mov_b32_e32 v13, 0x2f800000
	v_mov_b32_e32 v3, s9
	v_add_co_u32_e32 v2, vcc, s8, v10
	v_fmac_f32_e32 v13, 0x2f800000, v12
	v_addc_co_u32_e32 v3, vcc, v3, v11, vcc
	v_cvt_f64_f32_e32 v[12:13], v13
	v_mov_b32_e32 v19, s13
	v_add_co_u32_e32 v10, vcc, s12, v10
	v_fma_f64 v[12:13], v[16:17], v[12:13], s[14:15]
	v_addc_co_u32_e32 v11, vcc, v19, v11, vcc
	v_cvt_f32_f64_e32 v12, v[12:13]
	s_waitcnt vmcnt(0)
	v_mul_f32_e32 v13, v9, v12
	v_cmp_nge_f32_e32 vcc, 0, v9
	v_cndmask_b32_e32 v9, v13, v9, vcc
	v_cndmask_b32_e64 v12, v12, 1.0, vcc
	global_store_dword v[2:3], v9, off
	global_store_dword v[10:11], v12, off
.LBB3_19:                               ;   in Loop: Header=BB3_5 Depth=1
	s_or_b64 exec, exec, s[2:3]
	v_add_u32_e32 v2, s21, v0
	v_cmp_gt_i32_e32 vcc, s7, v2
	s_and_saveexec_b64 s[2:3], vcc
	s_cbranch_execz .LBB3_21
; %bb.20:                               ;   in Loop: Header=BB3_5 Depth=1
	v_ashrrev_i32_e32 v3, 31, v2
	v_lshlrev_b64 v[2:3], 2, v[2:3]
	v_mov_b32_e32 v9, s11
	v_add_co_u32_e32 v10, vcc, s10, v2
	v_addc_co_u32_e32 v11, vcc, v9, v3, vcc
	global_load_dword v9, v[10:11], off
	v_cvt_f32_u32_e32 v4, v4
	v_mov_b32_e32 v11, s9
	v_add_co_u32_e32 v10, vcc, s8, v2
	v_mov_b32_e32 v12, 0x2f800000
	v_addc_co_u32_e32 v11, vcc, v11, v3, vcc
	v_mov_b32_e32 v13, s13
	v_add_co_u32_e32 v2, vcc, s12, v2
	v_fmac_f32_e32 v12, 0x2f800000, v4
	v_addc_co_u32_e32 v3, vcc, v13, v3, vcc
	v_cvt_f64_f32_e32 v[12:13], v12
	v_fma_f64 v[12:13], v[16:17], v[12:13], s[14:15]
	v_cvt_f32_f64_e32 v4, v[12:13]
	s_waitcnt vmcnt(0)
	v_mul_f32_e32 v12, v9, v4
	v_cmp_nge_f32_e32 vcc, 0, v9
	v_cndmask_b32_e32 v9, v12, v9, vcc
	v_cndmask_b32_e64 v4, v4, 1.0, vcc
	global_store_dword v[10:11], v9, off
	global_store_dword v[2:3], v4, off
.LBB3_21:                               ;   in Loop: Header=BB3_5 Depth=1
	s_or_b64 exec, exec, s[2:3]
	v_add_u32_e32 v2, s22, v0
	v_cmp_gt_i32_e32 vcc, s7, v2
	s_and_saveexec_b64 s[2:3], vcc
	s_cbranch_execz .LBB3_4
; %bb.22:                               ;   in Loop: Header=BB3_5 Depth=1
	v_ashrrev_i32_e32 v3, 31, v2
	v_lshlrev_b64 v[2:3], 2, v[2:3]
	v_mov_b32_e32 v4, s11
	v_add_co_u32_e32 v10, vcc, s10, v2
	v_addc_co_u32_e32 v11, vcc, v4, v3, vcc
	global_load_dword v9, v[10:11], off
	v_cvt_f32_u32_e32 v10, v5
	v_mov_b32_e32 v11, 0x2f800000
	v_mov_b32_e32 v5, s9
	v_add_co_u32_e32 v4, vcc, s8, v2
	v_fmac_f32_e32 v11, 0x2f800000, v10
	v_addc_co_u32_e32 v5, vcc, v5, v3, vcc
	v_cvt_f64_f32_e32 v[10:11], v11
	v_mov_b32_e32 v12, s13
	v_add_co_u32_e32 v2, vcc, s12, v2
	v_fma_f64 v[10:11], v[16:17], v[10:11], s[14:15]
	v_addc_co_u32_e32 v3, vcc, v12, v3, vcc
	v_cvt_f32_f64_e32 v10, v[10:11]
	s_waitcnt vmcnt(0)
	v_mul_f32_e32 v11, v9, v10
	v_cmp_nge_f32_e32 vcc, 0, v9
	v_cndmask_b32_e32 v9, v11, v9, vcc
	v_cndmask_b32_e64 v10, v10, 1.0, vcc
	global_store_dword v[4:5], v9, off
	global_store_dword v[2:3], v10, off
	s_branch .LBB3_4
.LBB3_23:
	s_endpgm
	.section	.rodata,"a",@progbits
	.p2align	6, 0x0
	.amdhsa_kernel _ZN2at6native28rrelu_with_noise_cuda_kernelIfLi4EZNS0_28_rrelu_with_noise_cuda_trainIfEEvRNS_6TensorERKS3_S4_RKN3c106ScalarESA_St8optionalINS_9GeneratorEEEUlP25hiprandStatePhilox4_32_10E0_EEviNS_15PhiloxCudaStateEPT_PKSI_SJ_ddRKT1_
		.amdhsa_group_segment_fixed_size 0
		.amdhsa_private_segment_fixed_size 0
		.amdhsa_kernarg_size 344
		.amdhsa_user_sgpr_count 6
		.amdhsa_user_sgpr_private_segment_buffer 1
		.amdhsa_user_sgpr_dispatch_ptr 0
		.amdhsa_user_sgpr_queue_ptr 0
		.amdhsa_user_sgpr_kernarg_segment_ptr 1
		.amdhsa_user_sgpr_dispatch_id 0
		.amdhsa_user_sgpr_flat_scratch_init 0
		.amdhsa_user_sgpr_kernarg_preload_length 0
		.amdhsa_user_sgpr_kernarg_preload_offset 0
		.amdhsa_user_sgpr_private_segment_size 0
		.amdhsa_uses_dynamic_stack 0
		.amdhsa_system_sgpr_private_segment_wavefront_offset 0
		.amdhsa_system_sgpr_workgroup_id_x 1
		.amdhsa_system_sgpr_workgroup_id_y 0
		.amdhsa_system_sgpr_workgroup_id_z 0
		.amdhsa_system_sgpr_workgroup_info 0
		.amdhsa_system_vgpr_workitem_id 0
		.amdhsa_next_free_vgpr 44
		.amdhsa_next_free_sgpr 23
		.amdhsa_accum_offset 44
		.amdhsa_reserve_vcc 1
		.amdhsa_reserve_flat_scratch 0
		.amdhsa_float_round_mode_32 0
		.amdhsa_float_round_mode_16_64 0
		.amdhsa_float_denorm_mode_32 3
		.amdhsa_float_denorm_mode_16_64 3
		.amdhsa_dx10_clamp 1
		.amdhsa_ieee_mode 1
		.amdhsa_fp16_overflow 0
		.amdhsa_tg_split 0
		.amdhsa_exception_fp_ieee_invalid_op 0
		.amdhsa_exception_fp_denorm_src 0
		.amdhsa_exception_fp_ieee_div_zero 0
		.amdhsa_exception_fp_ieee_overflow 0
		.amdhsa_exception_fp_ieee_underflow 0
		.amdhsa_exception_fp_ieee_inexact 0
		.amdhsa_exception_int_div_zero 0
	.end_amdhsa_kernel
	.section	.text._ZN2at6native28rrelu_with_noise_cuda_kernelIfLi4EZNS0_28_rrelu_with_noise_cuda_trainIfEEvRNS_6TensorERKS3_S4_RKN3c106ScalarESA_St8optionalINS_9GeneratorEEEUlP25hiprandStatePhilox4_32_10E0_EEviNS_15PhiloxCudaStateEPT_PKSI_SJ_ddRKT1_,"axG",@progbits,_ZN2at6native28rrelu_with_noise_cuda_kernelIfLi4EZNS0_28_rrelu_with_noise_cuda_trainIfEEvRNS_6TensorERKS3_S4_RKN3c106ScalarESA_St8optionalINS_9GeneratorEEEUlP25hiprandStatePhilox4_32_10E0_EEviNS_15PhiloxCudaStateEPT_PKSI_SJ_ddRKT1_,comdat
.Lfunc_end3:
	.size	_ZN2at6native28rrelu_with_noise_cuda_kernelIfLi4EZNS0_28_rrelu_with_noise_cuda_trainIfEEvRNS_6TensorERKS3_S4_RKN3c106ScalarESA_St8optionalINS_9GeneratorEEEUlP25hiprandStatePhilox4_32_10E0_EEviNS_15PhiloxCudaStateEPT_PKSI_SJ_ddRKT1_, .Lfunc_end3-_ZN2at6native28rrelu_with_noise_cuda_kernelIfLi4EZNS0_28_rrelu_with_noise_cuda_trainIfEEvRNS_6TensorERKS3_S4_RKN3c106ScalarESA_St8optionalINS_9GeneratorEEEUlP25hiprandStatePhilox4_32_10E0_EEviNS_15PhiloxCudaStateEPT_PKSI_SJ_ddRKT1_
                                        ; -- End function
	.section	.AMDGPU.csdata,"",@progbits
; Kernel info:
; codeLenInByte = 2088
; NumSgprs: 27
; NumVgprs: 44
; NumAgprs: 0
; TotalNumVgprs: 44
; ScratchSize: 0
; MemoryBound: 0
; FloatMode: 240
; IeeeMode: 1
; LDSByteSize: 0 bytes/workgroup (compile time only)
; SGPRBlocks: 3
; VGPRBlocks: 5
; NumSGPRsForWavesPerEU: 27
; NumVGPRsForWavesPerEU: 44
; AccumOffset: 44
; Occupancy: 8
; WaveLimiterHint : 0
; COMPUTE_PGM_RSRC2:SCRATCH_EN: 0
; COMPUTE_PGM_RSRC2:USER_SGPR: 6
; COMPUTE_PGM_RSRC2:TRAP_HANDLER: 0
; COMPUTE_PGM_RSRC2:TGID_X_EN: 1
; COMPUTE_PGM_RSRC2:TGID_Y_EN: 0
; COMPUTE_PGM_RSRC2:TGID_Z_EN: 0
; COMPUTE_PGM_RSRC2:TIDIG_COMP_CNT: 0
; COMPUTE_PGM_RSRC3_GFX90A:ACCUM_OFFSET: 10
; COMPUTE_PGM_RSRC3_GFX90A:TG_SPLIT: 0
	.section	.text._ZN2at6native28rrelu_with_noise_cuda_kernelIN3c104HalfELi2EZNS0_28_rrelu_with_noise_cuda_trainIS3_EEvRNS_6TensorERKS5_S6_RKNS2_6ScalarESB_St8optionalINS_9GeneratorEEEUlP25hiprandStatePhilox4_32_10E_EEviNS_15PhiloxCudaStateEPT_PKSJ_SK_ddRKT1_,"axG",@progbits,_ZN2at6native28rrelu_with_noise_cuda_kernelIN3c104HalfELi2EZNS0_28_rrelu_with_noise_cuda_trainIS3_EEvRNS_6TensorERKS5_S6_RKNS2_6ScalarESB_St8optionalINS_9GeneratorEEEUlP25hiprandStatePhilox4_32_10E_EEviNS_15PhiloxCudaStateEPT_PKSJ_SK_ddRKT1_,comdat
	.protected	_ZN2at6native28rrelu_with_noise_cuda_kernelIN3c104HalfELi2EZNS0_28_rrelu_with_noise_cuda_trainIS3_EEvRNS_6TensorERKS5_S6_RKNS2_6ScalarESB_St8optionalINS_9GeneratorEEEUlP25hiprandStatePhilox4_32_10E_EEviNS_15PhiloxCudaStateEPT_PKSJ_SK_ddRKT1_ ; -- Begin function _ZN2at6native28rrelu_with_noise_cuda_kernelIN3c104HalfELi2EZNS0_28_rrelu_with_noise_cuda_trainIS3_EEvRNS_6TensorERKS5_S6_RKNS2_6ScalarESB_St8optionalINS_9GeneratorEEEUlP25hiprandStatePhilox4_32_10E_EEviNS_15PhiloxCudaStateEPT_PKSJ_SK_ddRKT1_
	.globl	_ZN2at6native28rrelu_with_noise_cuda_kernelIN3c104HalfELi2EZNS0_28_rrelu_with_noise_cuda_trainIS3_EEvRNS_6TensorERKS5_S6_RKNS2_6ScalarESB_St8optionalINS_9GeneratorEEEUlP25hiprandStatePhilox4_32_10E_EEviNS_15PhiloxCudaStateEPT_PKSJ_SK_ddRKT1_
	.p2align	8
	.type	_ZN2at6native28rrelu_with_noise_cuda_kernelIN3c104HalfELi2EZNS0_28_rrelu_with_noise_cuda_trainIS3_EEvRNS_6TensorERKS5_S6_RKNS2_6ScalarESB_St8optionalINS_9GeneratorEEEUlP25hiprandStatePhilox4_32_10E_EEviNS_15PhiloxCudaStateEPT_PKSJ_SK_ddRKT1_,@function
_ZN2at6native28rrelu_with_noise_cuda_kernelIN3c104HalfELi2EZNS0_28_rrelu_with_noise_cuda_trainIS3_EEvRNS_6TensorERKS5_S6_RKNS2_6ScalarESB_St8optionalINS_9GeneratorEEEUlP25hiprandStatePhilox4_32_10E_EEviNS_15PhiloxCudaStateEPT_PKSJ_SK_ddRKT1_: ; @_ZN2at6native28rrelu_with_noise_cuda_kernelIN3c104HalfELi2EZNS0_28_rrelu_with_noise_cuda_trainIS3_EEvRNS_6TensorERKS5_S6_RKNS2_6ScalarESB_St8optionalINS_9GeneratorEEEUlP25hiprandStatePhilox4_32_10E_EEviNS_15PhiloxCudaStateEPT_PKSJ_SK_ddRKT1_
; %bb.0:
	s_load_dword s7, s[4:5], 0x20
	s_load_dwordx4 s[0:3], s[4:5], 0x8
	s_waitcnt lgkmcnt(0)
	s_bitcmp0_b32 s7, 0
	v_pk_mov_b32 v[2:3], s[2:3], s[2:3] op_sel:[0,1]
	v_pk_mov_b32 v[14:15], s[0:1], s[0:1] op_sel:[0,1]
	s_cbranch_scc1 .LBB4_2
; %bb.1:
	v_pk_mov_b32 v[2:3], s[2:3], s[2:3] op_sel:[0,1]
	flat_load_dwordx2 v[2:3], v[2:3]
	v_pk_mov_b32 v[4:5], s[0:1], s[0:1] op_sel:[0,1]
	flat_load_dwordx2 v[14:15], v[4:5]
	s_load_dwordx2 s[0:1], s[4:5], 0x18
	s_waitcnt lgkmcnt(0)
	v_mov_b32_e32 v1, s1
	s_waitcnt vmcnt(0)
	v_add_co_u32_e32 v2, vcc, s0, v2
	v_addc_co_u32_e32 v3, vcc, v3, v1, vcc
.LBB4_2:
	s_load_dword s1, s[4:5], 0x64
	s_load_dword s0, s[4:5], 0x58
	s_load_dword s7, s[4:5], 0x0
	s_waitcnt lgkmcnt(0)
	s_and_b32 s1, s1, 0xffff
	s_mul_i32 s2, s0, s1
	s_lshl_b32 s16, s2, 1
	s_abs_i32 s2, s16
	v_cvt_f32_u32_e32 v1, s2
	s_sub_i32 s9, 0, s2
	s_add_i32 s3, s7, -1
	s_abs_i32 s8, s3
	v_rcp_iflag_f32_e32 v4, v1
	s_xor_b32 s3, s3, s16
	s_ashr_i32 s3, s3, 31
	s_mul_i32 s17, s6, s1
	v_mul_f32_e32 v4, 0x4f7ffffe, v4
	v_cvt_u32_f32_e32 v4, v4
	v_add_u32_e32 v1, s17, v0
	v_readfirstlane_b32 s10, v4
	s_mul_i32 s9, s9, s10
	s_mul_hi_u32 s9, s10, s9
	s_add_i32 s10, s10, s9
	s_mul_hi_u32 s9, s8, s10
	s_mul_i32 s10, s9, s2
	s_sub_i32 s8, s8, s10
	s_add_i32 s11, s9, 1
	s_sub_i32 s10, s8, s2
	s_cmp_ge_u32 s8, s2
	s_cselect_b32 s9, s11, s9
	s_cselect_b32 s8, s10, s8
	s_add_i32 s10, s9, 1
	s_cmp_ge_u32 s8, s2
	s_cselect_b32 s2, s10, s9
	s_xor_b32 s2, s2, s3
	s_sub_i32 s2, s2, s3
	s_add_i32 s2, s2, 1
	s_mul_i32 s18, s16, s2
	v_cmp_gt_i32_e32 vcc, s18, v1
	s_and_saveexec_b64 s[2:3], vcc
	s_cbranch_execz .LBB4_25
; %bb.3:
	s_load_dwordx8 s[8:15], s[4:5], 0x28
	s_load_dwordx2 s[2:3], s[4:5], 0x48
	v_mov_b32_e32 v4, v15
	v_alignbit_b32 v31, v3, v2, 2
	s_mov_b32 s19, 0xd2511f53
	s_waitcnt lgkmcnt(0)
	v_pk_mov_b32 v[6:7], s[14:15], s[14:15] op_sel:[0,1]
	v_add_f64 v[16:17], s[2:3], -v[6:7]
	s_mov_b32 s2, 0xdb3d7428
	v_add_co_u32_e32 v23, vcc, s2, v4
	s_mov_b32 s2, 0x5384540f
	v_add_co_u32_e32 v24, vcc, s2, v14
	;; [unrolled: 2-line block ×8, first 2 shown]
	v_mad_u64_u32 v[6:7], s[2:3], v31, s19, 0
	v_and_b32_e32 v20, 3, v2
	v_xor_b32_e32 v2, v7, v15
	v_ashrrev_i32_e32 v32, 31, v1
	v_xor_b32_e32 v2, v2, v32
	s_mov_b32 s20, 0xcd9e8d57
	v_mad_u64_u32 v[8:9], s[2:3], v2, s20, 0
	v_xor_b32_e32 v2, v30, v9
	v_mad_u64_u32 v[10:11], s[2:3], v1, s20, 0
	v_xor_b32_e32 v2, v2, v10
	;; [unrolled: 2-line block ×3, first 2 shown]
	v_lshrrev_b32_e32 v33, 2, v3
	v_xor_b32_e32 v2, v2, v33
	v_xor_b32_e32 v5, v29, v13
	v_mad_u64_u32 v[2:3], s[2:3], v2, s19, 0
	v_xor_b32_e32 v2, v5, v2
	v_mad_u64_u32 v[10:11], s[2:3], v2, s20, 0
	s_mov_b32 s2, 0xbb67ae85
	v_add_co_u32_e32 v34, vcc, s2, v4
	v_xor_b32_e32 v2, v34, v3
	v_xor_b32_e32 v2, v2, v6
	v_xor_b32_e32 v5, v28, v11
	v_mad_u64_u32 v[2:3], s[2:3], v2, s20, 0
	v_xor_b32_e32 v2, v5, v2
	v_mad_u64_u32 v[6:7], s[2:3], v2, s19, 0
	s_mov_b32 s2, 0x3c6ef372
	v_add_co_u32_e32 v35, vcc, s2, v14
	v_xor_b32_e32 v2, v35, v3
	;; [unrolled: 8-line block ×7, first 2 shown]
	v_xor_b32_e32 v2, v2, v12
	v_mad_u64_u32 v[2:3], s[2:3], v2, s20, 0
	s_mov_b32 s2, 0xf1bbcdc8
	v_add_co_u32_e32 v41, vcc, s2, v14
	v_xor_b32_e32 v3, v41, v3
	v_xor_b32_e32 v3, v3, v10
	v_mad_u64_u32 v[10:11], s[2:3], v3, s19, 0
	v_add_u32_e32 v21, 0x8ff34781, v14
	v_add_u32_e32 v22, 0x96a522ad, v15
	v_xor_b32_e32 v2, v9, v2
	v_xor_b32_e32 v3, v11, v6
	s_add_i32 s6, s6, s0
	v_xor_b32_e32 v2, v21, v2
	v_xor_b32_e32 v4, v22, v3
	v_mov_b32_e32 v3, v8
	v_mov_b32_e32 v5, v10
	s_mul_i32 s6, s6, s1
	s_mov_b64 s[0:1], 0
	v_mov_b32_e32 v42, 0x3c00
	s_branch .LBB4_5
.LBB4_4:                                ;   in Loop: Header=BB4_5 Depth=1
	s_or_b64 exec, exec, s[2:3]
	v_add_u32_e32 v0, s16, v0
	v_add_u32_e32 v2, s17, v0
	v_mov_b32_e32 v9, v18
	v_cmp_le_i32_e32 vcc, s18, v2
	v_pk_mov_b32 v[2:3], v[6:7], v[6:7] op_sel:[0,1]
	s_or_b64 s[0:1], vcc, s[0:1]
	v_pk_mov_b32 v[4:5], v[8:9], v[8:9] op_sel:[0,1]
	s_barrier
	s_andn2_b64 exec, exec, s[0:1]
	s_cbranch_execz .LBB4_25
.LBB4_5:                                ; =>This Inner Loop Header: Depth=1
	v_add_co_u32_e32 v31, vcc, 1, v31
	v_cndmask_b32_e64 v6, 0, 1, vcc
	v_addc_co_u32_e32 v33, vcc, 0, v33, vcc
	v_cmp_eq_u32_e32 vcc, 0, v33
	v_cndmask_b32_e32 v6, 0, v6, vcc
	v_add_u32_e32 v1, v6, v1
	v_cmp_eq_u32_e32 vcc, 0, v1
	v_cndmask_b32_e32 v6, 0, v6, vcc
	v_add_u32_e32 v32, v6, v32
	v_mad_u64_u32 v[6:7], s[2:3], v31, s19, 0
	v_mad_u64_u32 v[8:9], s[2:3], v1, s20, 0
	v_xor_b32_e32 v7, v7, v15
	v_xor_b32_e32 v9, v9, v14
	v_xor_b32_e32 v7, v32, v7
	v_xor_b32_e32 v9, v33, v9
	v_mad_u64_u32 v[12:13], s[2:3], v7, s20, 0
	v_mad_u64_u32 v[10:11], s[2:3], v9, s19, 0
	v_xor_b32_e32 v7, v30, v13
	v_xor_b32_e32 v7, v7, v8
	v_xor_b32_e32 v8, v34, v11
	v_xor_b32_e32 v8, v8, v6
	;; [unrolled: 6-line block ×10, first 2 shown]
	v_mov_b32_e32 v7, v12
	v_mov_b32_e32 v8, v13
	v_cmp_lt_i32_e32 vcc, 1, v20
	s_and_saveexec_b64 s[2:3], vcc
	s_xor_b64 s[2:3], exec, s[2:3]
	s_cbranch_execz .LBB4_11
; %bb.6:                                ;   in Loop: Header=BB4_5 Depth=1
	v_cmp_lt_i32_e32 vcc, 2, v20
	s_and_saveexec_b64 s[4:5], vcc
	s_xor_b64 s[4:5], exec, s[4:5]
; %bb.7:                                ;   in Loop: Header=BB4_5 Depth=1
	v_mov_b32_e32 v10, v5
	v_mov_b32_e32 v11, v6
	v_pk_mov_b32 v[2:3], v[10:11], v[10:11] op_sel:[0,1]
	v_pk_mov_b32 v[4:5], v[12:13], v[12:13] op_sel:[0,1]
                                        ; implicit-def: $vgpr12_vgpr13
; %bb.8:                                ;   in Loop: Header=BB4_5 Depth=1
	s_andn2_saveexec_b64 s[4:5], s[4:5]
; %bb.9:                                ;   in Loop: Header=BB4_5 Depth=1
	v_mov_b32_e32 v2, v4
	v_mov_b32_e32 v3, v5
	;; [unrolled: 1-line block ×4, first 2 shown]
; %bb.10:                               ;   in Loop: Header=BB4_5 Depth=1
	s_or_b64 exec, exec, s[4:5]
.LBB4_11:                               ;   in Loop: Header=BB4_5 Depth=1
	s_andn2_saveexec_b64 s[2:3], s[2:3]
	s_cbranch_execz .LBB4_15
; %bb.12:                               ;   in Loop: Header=BB4_5 Depth=1
	v_cmp_eq_u32_e32 vcc, 1, v20
	s_and_saveexec_b64 s[4:5], vcc
; %bb.13:                               ;   in Loop: Header=BB4_5 Depth=1
	v_mov_b32_e32 v2, v3
	v_mov_b32_e32 v3, v4
	;; [unrolled: 1-line block ×4, first 2 shown]
; %bb.14:                               ;   in Loop: Header=BB4_5 Depth=1
	s_or_b64 exec, exec, s[4:5]
.LBB4_15:                               ;   in Loop: Header=BB4_5 Depth=1
	s_or_b64 exec, exec, s[2:3]
	v_add_u32_e32 v10, s17, v0
	v_cmp_gt_i32_e32 vcc, s7, v10
	s_and_saveexec_b64 s[2:3], vcc
	s_cbranch_execz .LBB4_20
; %bb.16:                               ;   in Loop: Header=BB4_5 Depth=1
	v_ashrrev_i32_e32 v11, 31, v10
	v_lshlrev_b64 v[10:11], 1, v[10:11]
	v_mov_b32_e32 v9, s11
	v_add_co_u32_e32 v12, vcc, s10, v10
	v_addc_co_u32_e32 v13, vcc, v9, v11, vcc
	global_load_ushort v9, v[12:13], off
	s_waitcnt vmcnt(0)
	v_cmp_ge_f16_e32 vcc, 0, v9
	s_and_saveexec_b64 s[4:5], vcc
	s_xor_b64 s[4:5], exec, s[4:5]
	s_cbranch_execz .LBB4_18
; %bb.17:                               ;   in Loop: Header=BB4_5 Depth=1
	v_lshrrev_b32_e32 v3, 11, v3
	v_cvt_f64_u32_e32 v[12:13], v3
	v_ldexp_f64 v[12:13], v[12:13], 32
	v_cvt_f64_u32_e32 v[2:3], v2
	v_add_f64 v[2:3], v[12:13], v[2:3]
	v_mov_b32_e32 v12, 0
	v_mov_b32_e32 v13, 0x3ca00000
	v_fmac_f64_e32 v[12:13], 0x3ca00000, v[2:3]
	v_cvt_f32_f64_e32 v2, v[12:13]
	v_cvt_f16_f32_e32 v2, v2
	v_mov_b32_e32 v12, s9
	v_mov_b32_e32 v13, s13
	v_cvt_f32_f16_e32 v2, v2
	v_cvt_f64_f32_e32 v[2:3], v2
	v_fma_f64 v[2:3], v[16:17], v[2:3], s[14:15]
	v_cvt_f32_f64_e32 v2, v[2:3]
	v_cvt_f16_f32_e32 v19, v2
	v_add_co_u32_e32 v2, vcc, s8, v10
	v_addc_co_u32_e32 v3, vcc, v12, v11, vcc
	v_mul_f16_e32 v9, v9, v19
	global_store_short v[2:3], v9, off
	v_add_co_u32_e32 v2, vcc, s12, v10
	v_addc_co_u32_e32 v3, vcc, v13, v11, vcc
	global_store_short v[2:3], v19, off
                                        ; implicit-def: $vgpr10_vgpr11
                                        ; implicit-def: $vgpr9
.LBB4_18:                               ;   in Loop: Header=BB4_5 Depth=1
	s_andn2_saveexec_b64 s[4:5], s[4:5]
	s_cbranch_execz .LBB4_20
; %bb.19:                               ;   in Loop: Header=BB4_5 Depth=1
	v_mov_b32_e32 v3, s9
	v_add_co_u32_e32 v2, vcc, s8, v10
	v_addc_co_u32_e32 v3, vcc, v3, v11, vcc
	global_store_short v[2:3], v9, off
	v_mov_b32_e32 v3, s13
	v_add_co_u32_e32 v2, vcc, s12, v10
	v_addc_co_u32_e32 v3, vcc, v3, v11, vcc
	global_store_short v[2:3], v42, off
.LBB4_20:                               ;   in Loop: Header=BB4_5 Depth=1
	s_or_b64 exec, exec, s[2:3]
	v_add_u32_e32 v2, s6, v0
	v_cmp_gt_i32_e32 vcc, s7, v2
	s_and_saveexec_b64 s[2:3], vcc
	s_cbranch_execz .LBB4_4
; %bb.21:                               ;   in Loop: Header=BB4_5 Depth=1
	v_ashrrev_i32_e32 v3, 31, v2
	v_lshlrev_b64 v[2:3], 1, v[2:3]
	v_mov_b32_e32 v9, s11
	v_add_co_u32_e32 v10, vcc, s10, v2
	v_addc_co_u32_e32 v11, vcc, v9, v3, vcc
	global_load_ushort v9, v[10:11], off
	s_waitcnt vmcnt(0)
	v_cmp_ge_f16_e32 vcc, 0, v9
	s_and_saveexec_b64 s[4:5], vcc
	s_xor_b64 s[4:5], exec, s[4:5]
	s_cbranch_execz .LBB4_23
; %bb.22:                               ;   in Loop: Header=BB4_5 Depth=1
	v_lshrrev_b32_e32 v5, 11, v5
	v_cvt_f64_u32_e32 v[10:11], v5
	v_ldexp_f64 v[10:11], v[10:11], 32
	v_cvt_f64_u32_e32 v[4:5], v4
	v_add_f64 v[4:5], v[10:11], v[4:5]
	v_mov_b32_e32 v10, 0
	v_mov_b32_e32 v11, 0x3ca00000
	v_fmac_f64_e32 v[10:11], 0x3ca00000, v[4:5]
	v_cvt_f32_f64_e32 v4, v[10:11]
	v_cvt_f16_f32_e32 v4, v4
	v_mov_b32_e32 v10, s9
	v_mov_b32_e32 v11, s13
	v_cvt_f32_f16_e32 v4, v4
	v_cvt_f64_f32_e32 v[4:5], v4
	v_fma_f64 v[4:5], v[16:17], v[4:5], s[14:15]
	v_cvt_f32_f64_e32 v4, v[4:5]
	v_cvt_f16_f32_e32 v12, v4
	v_add_co_u32_e32 v4, vcc, s8, v2
	v_addc_co_u32_e32 v5, vcc, v10, v3, vcc
	v_add_co_u32_e32 v2, vcc, s12, v2
	v_mul_f16_e32 v9, v9, v12
	v_addc_co_u32_e32 v3, vcc, v11, v3, vcc
	global_store_short v[4:5], v9, off
	global_store_short v[2:3], v12, off
                                        ; implicit-def: $vgpr2_vgpr3
                                        ; implicit-def: $vgpr9
.LBB4_23:                               ;   in Loop: Header=BB4_5 Depth=1
	s_andn2_saveexec_b64 s[4:5], s[4:5]
	s_cbranch_execz .LBB4_4
; %bb.24:                               ;   in Loop: Header=BB4_5 Depth=1
	v_mov_b32_e32 v5, s9
	v_add_co_u32_e32 v4, vcc, s8, v2
	v_addc_co_u32_e32 v5, vcc, v5, v3, vcc
	global_store_short v[4:5], v9, off
	v_mov_b32_e32 v4, s13
	v_add_co_u32_e32 v2, vcc, s12, v2
	v_addc_co_u32_e32 v3, vcc, v4, v3, vcc
	global_store_short v[2:3], v42, off
	s_branch .LBB4_4
.LBB4_25:
	s_endpgm
	.section	.rodata,"a",@progbits
	.p2align	6, 0x0
	.amdhsa_kernel _ZN2at6native28rrelu_with_noise_cuda_kernelIN3c104HalfELi2EZNS0_28_rrelu_with_noise_cuda_trainIS3_EEvRNS_6TensorERKS5_S6_RKNS2_6ScalarESB_St8optionalINS_9GeneratorEEEUlP25hiprandStatePhilox4_32_10E_EEviNS_15PhiloxCudaStateEPT_PKSJ_SK_ddRKT1_
		.amdhsa_group_segment_fixed_size 0
		.amdhsa_private_segment_fixed_size 0
		.amdhsa_kernarg_size 344
		.amdhsa_user_sgpr_count 6
		.amdhsa_user_sgpr_private_segment_buffer 1
		.amdhsa_user_sgpr_dispatch_ptr 0
		.amdhsa_user_sgpr_queue_ptr 0
		.amdhsa_user_sgpr_kernarg_segment_ptr 1
		.amdhsa_user_sgpr_dispatch_id 0
		.amdhsa_user_sgpr_flat_scratch_init 0
		.amdhsa_user_sgpr_kernarg_preload_length 0
		.amdhsa_user_sgpr_kernarg_preload_offset 0
		.amdhsa_user_sgpr_private_segment_size 0
		.amdhsa_uses_dynamic_stack 0
		.amdhsa_system_sgpr_private_segment_wavefront_offset 0
		.amdhsa_system_sgpr_workgroup_id_x 1
		.amdhsa_system_sgpr_workgroup_id_y 0
		.amdhsa_system_sgpr_workgroup_id_z 0
		.amdhsa_system_sgpr_workgroup_info 0
		.amdhsa_system_vgpr_workitem_id 0
		.amdhsa_next_free_vgpr 43
		.amdhsa_next_free_sgpr 21
		.amdhsa_accum_offset 44
		.amdhsa_reserve_vcc 1
		.amdhsa_reserve_flat_scratch 0
		.amdhsa_float_round_mode_32 0
		.amdhsa_float_round_mode_16_64 0
		.amdhsa_float_denorm_mode_32 3
		.amdhsa_float_denorm_mode_16_64 3
		.amdhsa_dx10_clamp 1
		.amdhsa_ieee_mode 1
		.amdhsa_fp16_overflow 0
		.amdhsa_tg_split 0
		.amdhsa_exception_fp_ieee_invalid_op 0
		.amdhsa_exception_fp_denorm_src 0
		.amdhsa_exception_fp_ieee_div_zero 0
		.amdhsa_exception_fp_ieee_overflow 0
		.amdhsa_exception_fp_ieee_underflow 0
		.amdhsa_exception_fp_ieee_inexact 0
		.amdhsa_exception_int_div_zero 0
	.end_amdhsa_kernel
	.section	.text._ZN2at6native28rrelu_with_noise_cuda_kernelIN3c104HalfELi2EZNS0_28_rrelu_with_noise_cuda_trainIS3_EEvRNS_6TensorERKS5_S6_RKNS2_6ScalarESB_St8optionalINS_9GeneratorEEEUlP25hiprandStatePhilox4_32_10E_EEviNS_15PhiloxCudaStateEPT_PKSJ_SK_ddRKT1_,"axG",@progbits,_ZN2at6native28rrelu_with_noise_cuda_kernelIN3c104HalfELi2EZNS0_28_rrelu_with_noise_cuda_trainIS3_EEvRNS_6TensorERKS5_S6_RKNS2_6ScalarESB_St8optionalINS_9GeneratorEEEUlP25hiprandStatePhilox4_32_10E_EEviNS_15PhiloxCudaStateEPT_PKSJ_SK_ddRKT1_,comdat
.Lfunc_end4:
	.size	_ZN2at6native28rrelu_with_noise_cuda_kernelIN3c104HalfELi2EZNS0_28_rrelu_with_noise_cuda_trainIS3_EEvRNS_6TensorERKS5_S6_RKNS2_6ScalarESB_St8optionalINS_9GeneratorEEEUlP25hiprandStatePhilox4_32_10E_EEviNS_15PhiloxCudaStateEPT_PKSJ_SK_ddRKT1_, .Lfunc_end4-_ZN2at6native28rrelu_with_noise_cuda_kernelIN3c104HalfELi2EZNS0_28_rrelu_with_noise_cuda_trainIS3_EEvRNS_6TensorERKS5_S6_RKNS2_6ScalarESB_St8optionalINS_9GeneratorEEEUlP25hiprandStatePhilox4_32_10E_EEviNS_15PhiloxCudaStateEPT_PKSJ_SK_ddRKT1_
                                        ; -- End function
	.section	.AMDGPU.csdata,"",@progbits
; Kernel info:
; codeLenInByte = 1952
; NumSgprs: 25
; NumVgprs: 43
; NumAgprs: 0
; TotalNumVgprs: 43
; ScratchSize: 0
; MemoryBound: 0
; FloatMode: 240
; IeeeMode: 1
; LDSByteSize: 0 bytes/workgroup (compile time only)
; SGPRBlocks: 3
; VGPRBlocks: 5
; NumSGPRsForWavesPerEU: 25
; NumVGPRsForWavesPerEU: 43
; AccumOffset: 44
; Occupancy: 8
; WaveLimiterHint : 0
; COMPUTE_PGM_RSRC2:SCRATCH_EN: 0
; COMPUTE_PGM_RSRC2:USER_SGPR: 6
; COMPUTE_PGM_RSRC2:TRAP_HANDLER: 0
; COMPUTE_PGM_RSRC2:TGID_X_EN: 1
; COMPUTE_PGM_RSRC2:TGID_Y_EN: 0
; COMPUTE_PGM_RSRC2:TGID_Z_EN: 0
; COMPUTE_PGM_RSRC2:TIDIG_COMP_CNT: 0
; COMPUTE_PGM_RSRC3_GFX90A:ACCUM_OFFSET: 10
; COMPUTE_PGM_RSRC3_GFX90A:TG_SPLIT: 0
	.section	.text._ZN2at6native28rrelu_with_noise_cuda_kernelIN3c104HalfELi4EZNS0_28_rrelu_with_noise_cuda_trainIS3_EEvRNS_6TensorERKS5_S6_RKNS2_6ScalarESB_St8optionalINS_9GeneratorEEEUlP25hiprandStatePhilox4_32_10E0_EEviNS_15PhiloxCudaStateEPT_PKSJ_SK_ddRKT1_,"axG",@progbits,_ZN2at6native28rrelu_with_noise_cuda_kernelIN3c104HalfELi4EZNS0_28_rrelu_with_noise_cuda_trainIS3_EEvRNS_6TensorERKS5_S6_RKNS2_6ScalarESB_St8optionalINS_9GeneratorEEEUlP25hiprandStatePhilox4_32_10E0_EEviNS_15PhiloxCudaStateEPT_PKSJ_SK_ddRKT1_,comdat
	.protected	_ZN2at6native28rrelu_with_noise_cuda_kernelIN3c104HalfELi4EZNS0_28_rrelu_with_noise_cuda_trainIS3_EEvRNS_6TensorERKS5_S6_RKNS2_6ScalarESB_St8optionalINS_9GeneratorEEEUlP25hiprandStatePhilox4_32_10E0_EEviNS_15PhiloxCudaStateEPT_PKSJ_SK_ddRKT1_ ; -- Begin function _ZN2at6native28rrelu_with_noise_cuda_kernelIN3c104HalfELi4EZNS0_28_rrelu_with_noise_cuda_trainIS3_EEvRNS_6TensorERKS5_S6_RKNS2_6ScalarESB_St8optionalINS_9GeneratorEEEUlP25hiprandStatePhilox4_32_10E0_EEviNS_15PhiloxCudaStateEPT_PKSJ_SK_ddRKT1_
	.globl	_ZN2at6native28rrelu_with_noise_cuda_kernelIN3c104HalfELi4EZNS0_28_rrelu_with_noise_cuda_trainIS3_EEvRNS_6TensorERKS5_S6_RKNS2_6ScalarESB_St8optionalINS_9GeneratorEEEUlP25hiprandStatePhilox4_32_10E0_EEviNS_15PhiloxCudaStateEPT_PKSJ_SK_ddRKT1_
	.p2align	8
	.type	_ZN2at6native28rrelu_with_noise_cuda_kernelIN3c104HalfELi4EZNS0_28_rrelu_with_noise_cuda_trainIS3_EEvRNS_6TensorERKS5_S6_RKNS2_6ScalarESB_St8optionalINS_9GeneratorEEEUlP25hiprandStatePhilox4_32_10E0_EEviNS_15PhiloxCudaStateEPT_PKSJ_SK_ddRKT1_,@function
_ZN2at6native28rrelu_with_noise_cuda_kernelIN3c104HalfELi4EZNS0_28_rrelu_with_noise_cuda_trainIS3_EEvRNS_6TensorERKS5_S6_RKNS2_6ScalarESB_St8optionalINS_9GeneratorEEEUlP25hiprandStatePhilox4_32_10E0_EEviNS_15PhiloxCudaStateEPT_PKSJ_SK_ddRKT1_: ; @_ZN2at6native28rrelu_with_noise_cuda_kernelIN3c104HalfELi4EZNS0_28_rrelu_with_noise_cuda_trainIS3_EEvRNS_6TensorERKS5_S6_RKNS2_6ScalarESB_St8optionalINS_9GeneratorEEEUlP25hiprandStatePhilox4_32_10E0_EEviNS_15PhiloxCudaStateEPT_PKSJ_SK_ddRKT1_
; %bb.0:
	s_load_dword s7, s[4:5], 0x20
	s_load_dwordx4 s[0:3], s[4:5], 0x8
	s_waitcnt lgkmcnt(0)
	s_bitcmp0_b32 s7, 0
	v_pk_mov_b32 v[2:3], s[2:3], s[2:3] op_sel:[0,1]
	v_pk_mov_b32 v[14:15], s[0:1], s[0:1] op_sel:[0,1]
	s_cbranch_scc1 .LBB5_2
; %bb.1:
	v_pk_mov_b32 v[2:3], s[2:3], s[2:3] op_sel:[0,1]
	flat_load_dwordx2 v[2:3], v[2:3]
	v_pk_mov_b32 v[4:5], s[0:1], s[0:1] op_sel:[0,1]
	flat_load_dwordx2 v[14:15], v[4:5]
	s_load_dwordx2 s[0:1], s[4:5], 0x18
	s_waitcnt lgkmcnt(0)
	v_mov_b32_e32 v1, s1
	s_waitcnt vmcnt(0)
	v_add_co_u32_e32 v2, vcc, s0, v2
	v_addc_co_u32_e32 v3, vcc, v3, v1, vcc
.LBB5_2:
	s_load_dword s1, s[4:5], 0x64
	s_load_dword s0, s[4:5], 0x58
	s_load_dword s7, s[4:5], 0x0
	s_waitcnt lgkmcnt(0)
	s_and_b32 s1, s1, 0xffff
	s_mul_i32 s2, s0, s1
	s_lshl_b32 s16, s2, 2
	s_abs_i32 s2, s16
	v_cvt_f32_u32_e32 v1, s2
	s_sub_i32 s9, 0, s2
	s_add_i32 s3, s7, -1
	s_abs_i32 s8, s3
	v_rcp_iflag_f32_e32 v4, v1
	s_xor_b32 s3, s3, s16
	s_ashr_i32 s3, s3, 31
	s_mul_i32 s17, s6, s1
	v_mul_f32_e32 v4, 0x4f7ffffe, v4
	v_cvt_u32_f32_e32 v4, v4
	v_add_u32_e32 v1, s17, v0
	v_readfirstlane_b32 s10, v4
	s_mul_i32 s9, s9, s10
	s_mul_hi_u32 s9, s10, s9
	s_add_i32 s10, s10, s9
	s_mul_hi_u32 s9, s8, s10
	s_mul_i32 s10, s9, s2
	s_sub_i32 s8, s8, s10
	s_add_i32 s11, s9, 1
	s_sub_i32 s10, s8, s2
	s_cmp_ge_u32 s8, s2
	s_cselect_b32 s9, s11, s9
	s_cselect_b32 s8, s10, s8
	s_add_i32 s10, s9, 1
	s_cmp_ge_u32 s8, s2
	s_cselect_b32 s2, s10, s9
	s_xor_b32 s2, s2, s3
	s_sub_i32 s2, s2, s3
	s_add_i32 s2, s2, 1
	s_mul_i32 s18, s16, s2
	v_cmp_gt_i32_e32 vcc, s18, v1
	s_and_saveexec_b64 s[2:3], vcc
	s_cbranch_execz .LBB5_35
; %bb.3:
	s_load_dwordx8 s[8:15], s[4:5], 0x28
	s_load_dwordx2 s[2:3], s[4:5], 0x48
	v_mov_b32_e32 v4, v15
	v_alignbit_b32 v31, v3, v2, 2
	s_mov_b32 s19, 0xd2511f53
	s_waitcnt lgkmcnt(0)
	v_pk_mov_b32 v[6:7], s[14:15], s[14:15] op_sel:[0,1]
	v_add_f64 v[16:17], s[2:3], -v[6:7]
	s_mov_b32 s2, 0xdb3d7428
	v_add_co_u32_e32 v23, vcc, s2, v4
	s_mov_b32 s2, 0x5384540f
	v_add_co_u32_e32 v24, vcc, s2, v14
	;; [unrolled: 2-line block ×8, first 2 shown]
	v_mad_u64_u32 v[6:7], s[2:3], v31, s19, 0
	v_and_b32_e32 v20, 3, v2
	v_xor_b32_e32 v2, v7, v15
	v_ashrrev_i32_e32 v32, 31, v1
	v_xor_b32_e32 v2, v2, v32
	s_mov_b32 s20, 0xcd9e8d57
	v_mad_u64_u32 v[8:9], s[2:3], v2, s20, 0
	v_xor_b32_e32 v2, v30, v9
	v_mad_u64_u32 v[10:11], s[2:3], v1, s20, 0
	v_xor_b32_e32 v2, v2, v10
	;; [unrolled: 2-line block ×3, first 2 shown]
	v_lshrrev_b32_e32 v33, 2, v3
	v_xor_b32_e32 v2, v2, v33
	v_xor_b32_e32 v5, v29, v13
	v_mad_u64_u32 v[2:3], s[2:3], v2, s19, 0
	v_xor_b32_e32 v2, v5, v2
	v_mad_u64_u32 v[10:11], s[2:3], v2, s20, 0
	s_mov_b32 s2, 0xbb67ae85
	v_add_co_u32_e32 v34, vcc, s2, v4
	v_xor_b32_e32 v2, v34, v3
	v_xor_b32_e32 v2, v2, v6
	v_xor_b32_e32 v5, v28, v11
	v_mad_u64_u32 v[2:3], s[2:3], v2, s20, 0
	v_xor_b32_e32 v2, v5, v2
	v_mad_u64_u32 v[6:7], s[2:3], v2, s19, 0
	s_mov_b32 s2, 0x3c6ef372
	v_add_co_u32_e32 v35, vcc, s2, v14
	v_xor_b32_e32 v2, v35, v3
	v_xor_b32_e32 v2, v2, v8
	v_xor_b32_e32 v5, v27, v7
	v_mad_u64_u32 v[2:3], s[2:3], v2, s19, 0
	v_xor_b32_e32 v2, v5, v2
	v_mad_u64_u32 v[8:9], s[2:3], v2, s20, 0
	s_mov_b32 s2, 0x32370b8f
	v_add_co_u32_e32 v36, vcc, s2, v4
	v_xor_b32_e32 v2, v36, v3
	v_xor_b32_e32 v2, v2, v12
	v_xor_b32_e32 v5, v26, v9
	v_mad_u64_u32 v[2:3], s[2:3], v2, s20, 0
	v_xor_b32_e32 v2, v5, v2
	v_mad_u64_u32 v[12:13], s[2:3], v2, s19, 0
	s_mov_b32 s2, 0x78dde6e4
	v_add_co_u32_e32 v37, vcc, s2, v14
	v_xor_b32_e32 v2, v37, v3
	v_xor_b32_e32 v2, v2, v10
	v_xor_b32_e32 v5, v25, v13
	v_mad_u64_u32 v[2:3], s[2:3], v2, s19, 0
	v_xor_b32_e32 v2, v5, v2
	v_mad_u64_u32 v[10:11], s[2:3], v2, s20, 0
	s_mov_b32 s2, 0xa9066899
	v_add_co_u32_e32 v38, vcc, s2, v4
	v_xor_b32_e32 v2, v38, v3
	v_xor_b32_e32 v2, v2, v6
	v_xor_b32_e32 v5, v24, v11
	v_mad_u64_u32 v[2:3], s[2:3], v2, s20, 0
	v_xor_b32_e32 v2, v5, v2
	v_mad_u64_u32 v[6:7], s[2:3], v2, s19, 0
	s_mov_b32 s2, 0xb54cda56
	v_add_co_u32_e32 v39, vcc, s2, v14
	v_xor_b32_e32 v2, v39, v3
	v_xor_b32_e32 v2, v2, v8
	v_xor_b32_e32 v5, v23, v7
	v_mad_u64_u32 v[2:3], s[2:3], v2, s19, 0
	v_xor_b32_e32 v2, v5, v2
	v_mad_u64_u32 v[8:9], s[2:3], v2, s20, 0
	s_mov_b32 s2, 0x1fd5c5a3
	v_add_co_u32_e32 v40, vcc, s2, v4
	v_xor_b32_e32 v2, v40, v3
	v_xor_b32_e32 v2, v2, v12
	v_mad_u64_u32 v[2:3], s[2:3], v2, s20, 0
	s_mov_b32 s2, 0xf1bbcdc8
	v_add_co_u32_e32 v41, vcc, s2, v14
	v_xor_b32_e32 v3, v41, v3
	v_xor_b32_e32 v3, v3, v10
	v_mad_u64_u32 v[10:11], s[2:3], v3, s19, 0
	s_lshl_b32 s2, s0, 1
	s_add_i32 s21, s6, s2
	s_mul_i32 s2, s0, 3
	v_add_u32_e32 v21, 0x8ff34781, v14
	v_add_u32_e32 v22, 0x96a522ad, v15
	v_xor_b32_e32 v2, v9, v2
	v_xor_b32_e32 v3, v11, v6
	s_add_i32 s22, s6, s2
	s_add_i32 s6, s6, s0
	v_xor_b32_e32 v2, v21, v2
	v_xor_b32_e32 v4, v22, v3
	v_mov_b32_e32 v3, v8
	v_mov_b32_e32 v5, v10
	s_mul_i32 s21, s21, s1
	s_mul_i32 s22, s22, s1
	;; [unrolled: 1-line block ×3, first 2 shown]
	s_mov_b64 s[0:1], 0
	s_mov_b32 s23, 0x2f800000
	v_mov_b32_e32 v42, 0x3c00
	s_branch .LBB5_5
.LBB5_4:                                ;   in Loop: Header=BB5_5 Depth=1
	s_or_b64 exec, exec, s[2:3]
	v_add_u32_e32 v0, s16, v0
	v_add_u32_e32 v2, s17, v0
	v_mov_b32_e32 v9, v18
	v_cmp_le_i32_e32 vcc, s18, v2
	v_pk_mov_b32 v[2:3], v[6:7], v[6:7] op_sel:[0,1]
	s_or_b64 s[0:1], vcc, s[0:1]
	v_pk_mov_b32 v[4:5], v[8:9], v[8:9] op_sel:[0,1]
	s_barrier
	s_andn2_b64 exec, exec, s[0:1]
	s_cbranch_execz .LBB5_35
.LBB5_5:                                ; =>This Inner Loop Header: Depth=1
	v_add_co_u32_e32 v31, vcc, 1, v31
	v_cndmask_b32_e64 v6, 0, 1, vcc
	v_addc_co_u32_e32 v33, vcc, 0, v33, vcc
	v_cmp_eq_u32_e32 vcc, 0, v33
	v_cndmask_b32_e32 v6, 0, v6, vcc
	v_add_u32_e32 v1, v6, v1
	v_cmp_eq_u32_e32 vcc, 0, v1
	v_cndmask_b32_e32 v6, 0, v6, vcc
	v_add_u32_e32 v32, v6, v32
	v_mad_u64_u32 v[6:7], s[2:3], v31, s19, 0
	v_mad_u64_u32 v[8:9], s[2:3], v1, s20, 0
	v_xor_b32_e32 v7, v7, v15
	v_xor_b32_e32 v9, v9, v14
	v_xor_b32_e32 v7, v32, v7
	v_xor_b32_e32 v9, v33, v9
	v_mad_u64_u32 v[12:13], s[2:3], v7, s20, 0
	v_mad_u64_u32 v[10:11], s[2:3], v9, s19, 0
	v_xor_b32_e32 v7, v30, v13
	v_xor_b32_e32 v7, v7, v8
	v_xor_b32_e32 v8, v34, v11
	v_xor_b32_e32 v8, v8, v6
	v_mad_u64_u32 v[6:7], s[2:3], v7, s19, 0
	v_mad_u64_u32 v[8:9], s[2:3], v8, s20, 0
	v_xor_b32_e32 v7, v29, v7
	v_xor_b32_e32 v9, v35, v9
	v_xor_b32_e32 v7, v7, v10
	v_xor_b32_e32 v9, v9, v12
	v_mad_u64_u32 v[12:13], s[2:3], v7, s20, 0
	v_mad_u64_u32 v[10:11], s[2:3], v9, s19, 0
	v_xor_b32_e32 v7, v28, v13
	v_xor_b32_e32 v7, v7, v8
	v_xor_b32_e32 v8, v36, v11
	v_xor_b32_e32 v8, v8, v6
	v_mad_u64_u32 v[6:7], s[2:3], v7, s19, 0
	v_mad_u64_u32 v[8:9], s[2:3], v8, s20, 0
	v_xor_b32_e32 v7, v27, v7
	v_xor_b32_e32 v9, v37, v9
	v_xor_b32_e32 v7, v7, v10
	v_xor_b32_e32 v9, v9, v12
	v_mad_u64_u32 v[12:13], s[2:3], v7, s20, 0
	v_mad_u64_u32 v[10:11], s[2:3], v9, s19, 0
	v_xor_b32_e32 v7, v26, v13
	v_xor_b32_e32 v7, v7, v8
	v_xor_b32_e32 v8, v38, v11
	v_xor_b32_e32 v8, v8, v6
	v_mad_u64_u32 v[6:7], s[2:3], v7, s19, 0
	v_mad_u64_u32 v[8:9], s[2:3], v8, s20, 0
	v_xor_b32_e32 v7, v25, v7
	v_xor_b32_e32 v9, v39, v9
	v_xor_b32_e32 v7, v7, v10
	v_xor_b32_e32 v9, v9, v12
	v_mad_u64_u32 v[12:13], s[2:3], v7, s20, 0
	v_mad_u64_u32 v[10:11], s[2:3], v9, s19, 0
	v_xor_b32_e32 v7, v24, v13
	v_xor_b32_e32 v7, v7, v8
	v_xor_b32_e32 v8, v40, v11
	v_xor_b32_e32 v6, v8, v6
	v_mad_u64_u32 v[8:9], s[2:3], v7, s19, 0
	v_mad_u64_u32 v[6:7], s[2:3], v6, s20, 0
	v_xor_b32_e32 v7, v41, v7
	v_xor_b32_e32 v7, v7, v12
	v_xor_b32_e32 v9, v23, v9
	v_xor_b32_e32 v9, v9, v10
	v_mad_u64_u32 v[18:19], s[2:3], v7, s19, 0
	v_mad_u64_u32 v[12:13], s[2:3], v9, s20, 0
	v_xor_b32_e32 v7, v19, v8
	v_xor_b32_e32 v6, v13, v6
	v_xor_b32_e32 v13, v22, v7
	v_xor_b32_e32 v6, v21, v6
	v_mov_b32_e32 v7, v12
	v_mov_b32_e32 v8, v13
	v_cmp_lt_i32_e32 vcc, 1, v20
	s_and_saveexec_b64 s[2:3], vcc
	s_xor_b64 s[2:3], exec, s[2:3]
	s_cbranch_execz .LBB5_11
; %bb.6:                                ;   in Loop: Header=BB5_5 Depth=1
	v_cmp_lt_i32_e32 vcc, 2, v20
	s_and_saveexec_b64 s[4:5], vcc
	s_xor_b64 s[4:5], exec, s[4:5]
; %bb.7:                                ;   in Loop: Header=BB5_5 Depth=1
	v_mov_b32_e32 v10, v5
	v_mov_b32_e32 v11, v6
	v_pk_mov_b32 v[2:3], v[10:11], v[10:11] op_sel:[0,1]
	v_pk_mov_b32 v[4:5], v[12:13], v[12:13] op_sel:[0,1]
                                        ; implicit-def: $vgpr12_vgpr13
; %bb.8:                                ;   in Loop: Header=BB5_5 Depth=1
	s_andn2_saveexec_b64 s[4:5], s[4:5]
; %bb.9:                                ;   in Loop: Header=BB5_5 Depth=1
	v_mov_b32_e32 v2, v4
	v_mov_b32_e32 v3, v5
	;; [unrolled: 1-line block ×4, first 2 shown]
; %bb.10:                               ;   in Loop: Header=BB5_5 Depth=1
	s_or_b64 exec, exec, s[4:5]
.LBB5_11:                               ;   in Loop: Header=BB5_5 Depth=1
	s_andn2_saveexec_b64 s[2:3], s[2:3]
	s_cbranch_execz .LBB5_15
; %bb.12:                               ;   in Loop: Header=BB5_5 Depth=1
	v_cmp_eq_u32_e32 vcc, 1, v20
	s_and_saveexec_b64 s[4:5], vcc
; %bb.13:                               ;   in Loop: Header=BB5_5 Depth=1
	v_mov_b32_e32 v2, v3
	v_mov_b32_e32 v3, v4
	v_mov_b32_e32 v4, v5
	v_mov_b32_e32 v5, v6
; %bb.14:                               ;   in Loop: Header=BB5_5 Depth=1
	s_or_b64 exec, exec, s[4:5]
.LBB5_15:                               ;   in Loop: Header=BB5_5 Depth=1
	s_or_b64 exec, exec, s[2:3]
	v_add_u32_e32 v10, s17, v0
	v_cmp_gt_i32_e32 vcc, s7, v10
	s_and_saveexec_b64 s[2:3], vcc
	s_cbranch_execz .LBB5_20
; %bb.16:                               ;   in Loop: Header=BB5_5 Depth=1
	v_ashrrev_i32_e32 v11, 31, v10
	v_lshlrev_b64 v[10:11], 1, v[10:11]
	v_mov_b32_e32 v9, s11
	v_add_co_u32_e32 v12, vcc, s10, v10
	v_addc_co_u32_e32 v13, vcc, v9, v11, vcc
	global_load_ushort v9, v[12:13], off
	s_waitcnt vmcnt(0)
	v_cmp_ge_f16_e32 vcc, 0, v9
	s_and_saveexec_b64 s[4:5], vcc
	s_xor_b64 s[4:5], exec, s[4:5]
	s_cbranch_execz .LBB5_18
; %bb.17:                               ;   in Loop: Header=BB5_5 Depth=1
	v_cvt_f32_u32_e32 v2, v2
	v_mov_b32_e32 v19, s9
	v_mov_b32_e32 v43, s13
	v_fma_mixlo_f16 v2, v2, s23, s23
	v_cvt_f32_f16_e32 v2, v2
	v_cvt_f64_f32_e32 v[12:13], v2
	v_fma_f64 v[12:13], v[16:17], v[12:13], s[14:15]
	v_cvt_f32_f64_e32 v2, v[12:13]
	v_cvt_f16_f32_e32 v2, v2
	v_add_co_u32_e32 v12, vcc, s8, v10
	v_addc_co_u32_e32 v13, vcc, v19, v11, vcc
	v_add_co_u32_e32 v10, vcc, s12, v10
	v_mul_f16_e32 v9, v9, v2
	v_addc_co_u32_e32 v11, vcc, v43, v11, vcc
	global_store_short v[12:13], v9, off
	global_store_short v[10:11], v2, off
                                        ; implicit-def: $vgpr10_vgpr11
                                        ; implicit-def: $vgpr9
.LBB5_18:                               ;   in Loop: Header=BB5_5 Depth=1
	s_andn2_saveexec_b64 s[4:5], s[4:5]
	s_cbranch_execz .LBB5_20
; %bb.19:                               ;   in Loop: Header=BB5_5 Depth=1
	v_mov_b32_e32 v2, s9
	v_add_co_u32_e32 v12, vcc, s8, v10
	v_addc_co_u32_e32 v13, vcc, v2, v11, vcc
	v_mov_b32_e32 v2, s13
	v_add_co_u32_e32 v10, vcc, s12, v10
	v_addc_co_u32_e32 v11, vcc, v2, v11, vcc
	global_store_short v[12:13], v9, off
	global_store_short v[10:11], v42, off
.LBB5_20:                               ;   in Loop: Header=BB5_5 Depth=1
	s_or_b64 exec, exec, s[2:3]
	v_add_u32_e32 v10, s6, v0
	v_cmp_gt_i32_e32 vcc, s7, v10
	s_and_saveexec_b64 s[2:3], vcc
	s_cbranch_execz .LBB5_25
; %bb.21:                               ;   in Loop: Header=BB5_5 Depth=1
	v_ashrrev_i32_e32 v11, 31, v10
	v_lshlrev_b64 v[10:11], 1, v[10:11]
	v_mov_b32_e32 v2, s11
	v_add_co_u32_e32 v12, vcc, s10, v10
	v_addc_co_u32_e32 v13, vcc, v2, v11, vcc
	global_load_ushort v2, v[12:13], off
	s_waitcnt vmcnt(0)
	v_cmp_ge_f16_e32 vcc, 0, v2
	s_and_saveexec_b64 s[4:5], vcc
	s_xor_b64 s[4:5], exec, s[4:5]
	s_cbranch_execz .LBB5_23
; %bb.22:                               ;   in Loop: Header=BB5_5 Depth=1
	v_cvt_f32_u32_e32 v3, v3
	v_mov_b32_e32 v9, s9
	v_mov_b32_e32 v19, s13
	v_fma_mixlo_f16 v3, v3, s23, s23
	v_cvt_f32_f16_e32 v3, v3
	v_cvt_f64_f32_e32 v[12:13], v3
	v_fma_f64 v[12:13], v[16:17], v[12:13], s[14:15]
	v_cvt_f32_f64_e32 v3, v[12:13]
	v_cvt_f16_f32_e32 v43, v3
	v_add_co_u32_e32 v12, vcc, s8, v10
	v_addc_co_u32_e32 v13, vcc, v9, v11, vcc
	v_mul_f16_e32 v2, v2, v43
	global_store_short v[12:13], v2, off
	v_add_co_u32_e32 v2, vcc, s12, v10
	v_addc_co_u32_e32 v3, vcc, v19, v11, vcc
	global_store_short v[2:3], v43, off
                                        ; implicit-def: $vgpr10_vgpr11
                                        ; implicit-def: $vgpr2
.LBB5_23:                               ;   in Loop: Header=BB5_5 Depth=1
	s_andn2_saveexec_b64 s[4:5], s[4:5]
	s_cbranch_execz .LBB5_25
; %bb.24:                               ;   in Loop: Header=BB5_5 Depth=1
	v_mov_b32_e32 v3, s9
	v_add_co_u32_e32 v12, vcc, s8, v10
	v_addc_co_u32_e32 v13, vcc, v3, v11, vcc
	global_store_short v[12:13], v2, off
	v_mov_b32_e32 v3, s13
	v_add_co_u32_e32 v2, vcc, s12, v10
	v_addc_co_u32_e32 v3, vcc, v3, v11, vcc
	global_store_short v[2:3], v42, off
.LBB5_25:                               ;   in Loop: Header=BB5_5 Depth=1
	s_or_b64 exec, exec, s[2:3]
	v_add_u32_e32 v2, s21, v0
	v_cmp_gt_i32_e32 vcc, s7, v2
	s_and_saveexec_b64 s[2:3], vcc
	s_cbranch_execz .LBB5_30
; %bb.26:                               ;   in Loop: Header=BB5_5 Depth=1
	v_ashrrev_i32_e32 v3, 31, v2
	v_lshlrev_b64 v[2:3], 1, v[2:3]
	v_mov_b32_e32 v9, s11
	v_add_co_u32_e32 v10, vcc, s10, v2
	v_addc_co_u32_e32 v11, vcc, v9, v3, vcc
	global_load_ushort v9, v[10:11], off
	s_waitcnt vmcnt(0)
	v_cmp_ge_f16_e32 vcc, 0, v9
	s_and_saveexec_b64 s[4:5], vcc
	s_xor_b64 s[4:5], exec, s[4:5]
	s_cbranch_execz .LBB5_28
; %bb.27:                               ;   in Loop: Header=BB5_5 Depth=1
	v_cvt_f32_u32_e32 v4, v4
	v_mov_b32_e32 v12, s9
	v_mov_b32_e32 v13, s13
	v_fma_mixlo_f16 v4, v4, s23, s23
	v_cvt_f32_f16_e32 v4, v4
	v_cvt_f64_f32_e32 v[10:11], v4
	v_fma_f64 v[10:11], v[16:17], v[10:11], s[14:15]
	v_cvt_f32_f64_e32 v4, v[10:11]
	v_cvt_f16_f32_e32 v4, v4
	v_add_co_u32_e32 v10, vcc, s8, v2
	v_addc_co_u32_e32 v11, vcc, v12, v3, vcc
	v_add_co_u32_e32 v2, vcc, s12, v2
	v_mul_f16_e32 v9, v9, v4
	v_addc_co_u32_e32 v3, vcc, v13, v3, vcc
	global_store_short v[10:11], v9, off
	global_store_short v[2:3], v4, off
                                        ; implicit-def: $vgpr2_vgpr3
                                        ; implicit-def: $vgpr9
.LBB5_28:                               ;   in Loop: Header=BB5_5 Depth=1
	s_andn2_saveexec_b64 s[4:5], s[4:5]
	s_cbranch_execz .LBB5_30
; %bb.29:                               ;   in Loop: Header=BB5_5 Depth=1
	v_mov_b32_e32 v4, s9
	v_add_co_u32_e32 v10, vcc, s8, v2
	v_addc_co_u32_e32 v11, vcc, v4, v3, vcc
	v_mov_b32_e32 v4, s13
	v_add_co_u32_e32 v2, vcc, s12, v2
	v_addc_co_u32_e32 v3, vcc, v4, v3, vcc
	global_store_short v[10:11], v9, off
	global_store_short v[2:3], v42, off
.LBB5_30:                               ;   in Loop: Header=BB5_5 Depth=1
	s_or_b64 exec, exec, s[2:3]
	v_add_u32_e32 v2, s22, v0
	v_cmp_gt_i32_e32 vcc, s7, v2
	s_and_saveexec_b64 s[2:3], vcc
	s_cbranch_execz .LBB5_4
; %bb.31:                               ;   in Loop: Header=BB5_5 Depth=1
	v_ashrrev_i32_e32 v3, 31, v2
	v_lshlrev_b64 v[2:3], 1, v[2:3]
	v_mov_b32_e32 v4, s11
	v_add_co_u32_e32 v10, vcc, s10, v2
	v_addc_co_u32_e32 v11, vcc, v4, v3, vcc
	global_load_ushort v4, v[10:11], off
	s_waitcnt vmcnt(0)
	v_cmp_ge_f16_e32 vcc, 0, v4
	s_and_saveexec_b64 s[4:5], vcc
	s_xor_b64 s[4:5], exec, s[4:5]
	s_cbranch_execz .LBB5_33
; %bb.32:                               ;   in Loop: Header=BB5_5 Depth=1
	v_cvt_f32_u32_e32 v5, v5
	v_mov_b32_e32 v9, s9
	v_mov_b32_e32 v12, s13
	v_fma_mixlo_f16 v5, v5, s23, s23
	v_cvt_f32_f16_e32 v5, v5
	v_cvt_f64_f32_e32 v[10:11], v5
	v_fma_f64 v[10:11], v[16:17], v[10:11], s[14:15]
	v_cvt_f32_f64_e32 v5, v[10:11]
	v_cvt_f16_f32_e32 v5, v5
	v_add_co_u32_e32 v10, vcc, s8, v2
	v_addc_co_u32_e32 v11, vcc, v9, v3, vcc
	v_add_co_u32_e32 v2, vcc, s12, v2
	v_mul_f16_e32 v4, v4, v5
	v_addc_co_u32_e32 v3, vcc, v12, v3, vcc
	global_store_short v[10:11], v4, off
	global_store_short v[2:3], v5, off
                                        ; implicit-def: $vgpr2_vgpr3
                                        ; implicit-def: $vgpr4
.LBB5_33:                               ;   in Loop: Header=BB5_5 Depth=1
	s_andn2_saveexec_b64 s[4:5], s[4:5]
	s_cbranch_execz .LBB5_4
; %bb.34:                               ;   in Loop: Header=BB5_5 Depth=1
	v_mov_b32_e32 v5, s9
	v_add_co_u32_e32 v10, vcc, s8, v2
	v_addc_co_u32_e32 v11, vcc, v5, v3, vcc
	global_store_short v[10:11], v4, off
	v_mov_b32_e32 v4, s13
	v_add_co_u32_e32 v2, vcc, s12, v2
	v_addc_co_u32_e32 v3, vcc, v4, v3, vcc
	global_store_short v[2:3], v42, off
	s_branch .LBB5_4
.LBB5_35:
	s_endpgm
	.section	.rodata,"a",@progbits
	.p2align	6, 0x0
	.amdhsa_kernel _ZN2at6native28rrelu_with_noise_cuda_kernelIN3c104HalfELi4EZNS0_28_rrelu_with_noise_cuda_trainIS3_EEvRNS_6TensorERKS5_S6_RKNS2_6ScalarESB_St8optionalINS_9GeneratorEEEUlP25hiprandStatePhilox4_32_10E0_EEviNS_15PhiloxCudaStateEPT_PKSJ_SK_ddRKT1_
		.amdhsa_group_segment_fixed_size 0
		.amdhsa_private_segment_fixed_size 0
		.amdhsa_kernarg_size 344
		.amdhsa_user_sgpr_count 6
		.amdhsa_user_sgpr_private_segment_buffer 1
		.amdhsa_user_sgpr_dispatch_ptr 0
		.amdhsa_user_sgpr_queue_ptr 0
		.amdhsa_user_sgpr_kernarg_segment_ptr 1
		.amdhsa_user_sgpr_dispatch_id 0
		.amdhsa_user_sgpr_flat_scratch_init 0
		.amdhsa_user_sgpr_kernarg_preload_length 0
		.amdhsa_user_sgpr_kernarg_preload_offset 0
		.amdhsa_user_sgpr_private_segment_size 0
		.amdhsa_uses_dynamic_stack 0
		.amdhsa_system_sgpr_private_segment_wavefront_offset 0
		.amdhsa_system_sgpr_workgroup_id_x 1
		.amdhsa_system_sgpr_workgroup_id_y 0
		.amdhsa_system_sgpr_workgroup_id_z 0
		.amdhsa_system_sgpr_workgroup_info 0
		.amdhsa_system_vgpr_workitem_id 0
		.amdhsa_next_free_vgpr 44
		.amdhsa_next_free_sgpr 24
		.amdhsa_accum_offset 44
		.amdhsa_reserve_vcc 1
		.amdhsa_reserve_flat_scratch 0
		.amdhsa_float_round_mode_32 0
		.amdhsa_float_round_mode_16_64 0
		.amdhsa_float_denorm_mode_32 3
		.amdhsa_float_denorm_mode_16_64 3
		.amdhsa_dx10_clamp 1
		.amdhsa_ieee_mode 1
		.amdhsa_fp16_overflow 0
		.amdhsa_tg_split 0
		.amdhsa_exception_fp_ieee_invalid_op 0
		.amdhsa_exception_fp_denorm_src 0
		.amdhsa_exception_fp_ieee_div_zero 0
		.amdhsa_exception_fp_ieee_overflow 0
		.amdhsa_exception_fp_ieee_underflow 0
		.amdhsa_exception_fp_ieee_inexact 0
		.amdhsa_exception_int_div_zero 0
	.end_amdhsa_kernel
	.section	.text._ZN2at6native28rrelu_with_noise_cuda_kernelIN3c104HalfELi4EZNS0_28_rrelu_with_noise_cuda_trainIS3_EEvRNS_6TensorERKS5_S6_RKNS2_6ScalarESB_St8optionalINS_9GeneratorEEEUlP25hiprandStatePhilox4_32_10E0_EEviNS_15PhiloxCudaStateEPT_PKSJ_SK_ddRKT1_,"axG",@progbits,_ZN2at6native28rrelu_with_noise_cuda_kernelIN3c104HalfELi4EZNS0_28_rrelu_with_noise_cuda_trainIS3_EEvRNS_6TensorERKS5_S6_RKNS2_6ScalarESB_St8optionalINS_9GeneratorEEEUlP25hiprandStatePhilox4_32_10E0_EEviNS_15PhiloxCudaStateEPT_PKSJ_SK_ddRKT1_,comdat
.Lfunc_end5:
	.size	_ZN2at6native28rrelu_with_noise_cuda_kernelIN3c104HalfELi4EZNS0_28_rrelu_with_noise_cuda_trainIS3_EEvRNS_6TensorERKS5_S6_RKNS2_6ScalarESB_St8optionalINS_9GeneratorEEEUlP25hiprandStatePhilox4_32_10E0_EEviNS_15PhiloxCudaStateEPT_PKSJ_SK_ddRKT1_, .Lfunc_end5-_ZN2at6native28rrelu_with_noise_cuda_kernelIN3c104HalfELi4EZNS0_28_rrelu_with_noise_cuda_trainIS3_EEvRNS_6TensorERKS5_S6_RKNS2_6ScalarESB_St8optionalINS_9GeneratorEEEUlP25hiprandStatePhilox4_32_10E0_EEviNS_15PhiloxCudaStateEPT_PKSJ_SK_ddRKT1_
                                        ; -- End function
	.section	.AMDGPU.csdata,"",@progbits
; Kernel info:
; codeLenInByte = 2296
; NumSgprs: 28
; NumVgprs: 44
; NumAgprs: 0
; TotalNumVgprs: 44
; ScratchSize: 0
; MemoryBound: 0
; FloatMode: 240
; IeeeMode: 1
; LDSByteSize: 0 bytes/workgroup (compile time only)
; SGPRBlocks: 3
; VGPRBlocks: 5
; NumSGPRsForWavesPerEU: 28
; NumVGPRsForWavesPerEU: 44
; AccumOffset: 44
; Occupancy: 8
; WaveLimiterHint : 0
; COMPUTE_PGM_RSRC2:SCRATCH_EN: 0
; COMPUTE_PGM_RSRC2:USER_SGPR: 6
; COMPUTE_PGM_RSRC2:TRAP_HANDLER: 0
; COMPUTE_PGM_RSRC2:TGID_X_EN: 1
; COMPUTE_PGM_RSRC2:TGID_Y_EN: 0
; COMPUTE_PGM_RSRC2:TGID_Z_EN: 0
; COMPUTE_PGM_RSRC2:TIDIG_COMP_CNT: 0
; COMPUTE_PGM_RSRC3_GFX90A:ACCUM_OFFSET: 10
; COMPUTE_PGM_RSRC3_GFX90A:TG_SPLIT: 0
	.section	.text._ZN2at6native28rrelu_with_noise_cuda_kernelIN3c108BFloat16ELi2EZNS0_28_rrelu_with_noise_cuda_trainIS3_EEvRNS_6TensorERKS5_S6_RKNS2_6ScalarESB_St8optionalINS_9GeneratorEEEUlP25hiprandStatePhilox4_32_10E_EEviNS_15PhiloxCudaStateEPT_PKSJ_SK_ddRKT1_,"axG",@progbits,_ZN2at6native28rrelu_with_noise_cuda_kernelIN3c108BFloat16ELi2EZNS0_28_rrelu_with_noise_cuda_trainIS3_EEvRNS_6TensorERKS5_S6_RKNS2_6ScalarESB_St8optionalINS_9GeneratorEEEUlP25hiprandStatePhilox4_32_10E_EEviNS_15PhiloxCudaStateEPT_PKSJ_SK_ddRKT1_,comdat
	.protected	_ZN2at6native28rrelu_with_noise_cuda_kernelIN3c108BFloat16ELi2EZNS0_28_rrelu_with_noise_cuda_trainIS3_EEvRNS_6TensorERKS5_S6_RKNS2_6ScalarESB_St8optionalINS_9GeneratorEEEUlP25hiprandStatePhilox4_32_10E_EEviNS_15PhiloxCudaStateEPT_PKSJ_SK_ddRKT1_ ; -- Begin function _ZN2at6native28rrelu_with_noise_cuda_kernelIN3c108BFloat16ELi2EZNS0_28_rrelu_with_noise_cuda_trainIS3_EEvRNS_6TensorERKS5_S6_RKNS2_6ScalarESB_St8optionalINS_9GeneratorEEEUlP25hiprandStatePhilox4_32_10E_EEviNS_15PhiloxCudaStateEPT_PKSJ_SK_ddRKT1_
	.globl	_ZN2at6native28rrelu_with_noise_cuda_kernelIN3c108BFloat16ELi2EZNS0_28_rrelu_with_noise_cuda_trainIS3_EEvRNS_6TensorERKS5_S6_RKNS2_6ScalarESB_St8optionalINS_9GeneratorEEEUlP25hiprandStatePhilox4_32_10E_EEviNS_15PhiloxCudaStateEPT_PKSJ_SK_ddRKT1_
	.p2align	8
	.type	_ZN2at6native28rrelu_with_noise_cuda_kernelIN3c108BFloat16ELi2EZNS0_28_rrelu_with_noise_cuda_trainIS3_EEvRNS_6TensorERKS5_S6_RKNS2_6ScalarESB_St8optionalINS_9GeneratorEEEUlP25hiprandStatePhilox4_32_10E_EEviNS_15PhiloxCudaStateEPT_PKSJ_SK_ddRKT1_,@function
_ZN2at6native28rrelu_with_noise_cuda_kernelIN3c108BFloat16ELi2EZNS0_28_rrelu_with_noise_cuda_trainIS3_EEvRNS_6TensorERKS5_S6_RKNS2_6ScalarESB_St8optionalINS_9GeneratorEEEUlP25hiprandStatePhilox4_32_10E_EEviNS_15PhiloxCudaStateEPT_PKSJ_SK_ddRKT1_: ; @_ZN2at6native28rrelu_with_noise_cuda_kernelIN3c108BFloat16ELi2EZNS0_28_rrelu_with_noise_cuda_trainIS3_EEvRNS_6TensorERKS5_S6_RKNS2_6ScalarESB_St8optionalINS_9GeneratorEEEUlP25hiprandStatePhilox4_32_10E_EEviNS_15PhiloxCudaStateEPT_PKSJ_SK_ddRKT1_
; %bb.0:
	s_load_dword s7, s[4:5], 0x20
	s_load_dwordx4 s[0:3], s[4:5], 0x8
	s_waitcnt lgkmcnt(0)
	s_bitcmp0_b32 s7, 0
	v_pk_mov_b32 v[2:3], s[2:3], s[2:3] op_sel:[0,1]
	v_pk_mov_b32 v[14:15], s[0:1], s[0:1] op_sel:[0,1]
	s_cbranch_scc1 .LBB6_2
; %bb.1:
	v_pk_mov_b32 v[2:3], s[2:3], s[2:3] op_sel:[0,1]
	flat_load_dwordx2 v[2:3], v[2:3]
	v_pk_mov_b32 v[4:5], s[0:1], s[0:1] op_sel:[0,1]
	flat_load_dwordx2 v[14:15], v[4:5]
	s_load_dwordx2 s[0:1], s[4:5], 0x18
	s_waitcnt lgkmcnt(0)
	v_mov_b32_e32 v1, s1
	s_waitcnt vmcnt(0)
	v_add_co_u32_e32 v2, vcc, s0, v2
	v_addc_co_u32_e32 v3, vcc, v3, v1, vcc
.LBB6_2:
	s_load_dword s1, s[4:5], 0x64
	s_load_dword s0, s[4:5], 0x58
	;; [unrolled: 1-line block ×3, first 2 shown]
	s_waitcnt lgkmcnt(0)
	s_and_b32 s1, s1, 0xffff
	s_mul_i32 s2, s0, s1
	s_lshl_b32 s16, s2, 1
	s_abs_i32 s2, s16
	v_cvt_f32_u32_e32 v1, s2
	s_sub_i32 s9, 0, s2
	s_add_i32 s3, s7, -1
	s_abs_i32 s8, s3
	v_rcp_iflag_f32_e32 v4, v1
	s_xor_b32 s3, s3, s16
	s_ashr_i32 s3, s3, 31
	s_mul_i32 s17, s6, s1
	v_mul_f32_e32 v4, 0x4f7ffffe, v4
	v_cvt_u32_f32_e32 v4, v4
	v_add_u32_e32 v1, s17, v0
	v_readfirstlane_b32 s10, v4
	s_mul_i32 s9, s9, s10
	s_mul_hi_u32 s9, s10, s9
	s_add_i32 s10, s10, s9
	s_mul_hi_u32 s9, s8, s10
	s_mul_i32 s10, s9, s2
	s_sub_i32 s8, s8, s10
	s_add_i32 s11, s9, 1
	s_sub_i32 s10, s8, s2
	s_cmp_ge_u32 s8, s2
	s_cselect_b32 s9, s11, s9
	s_cselect_b32 s8, s10, s8
	s_add_i32 s10, s9, 1
	s_cmp_ge_u32 s8, s2
	s_cselect_b32 s2, s10, s9
	s_xor_b32 s2, s2, s3
	s_sub_i32 s2, s2, s3
	s_add_i32 s2, s2, 1
	s_mul_i32 s18, s16, s2
	v_cmp_gt_i32_e32 vcc, s18, v1
	s_and_saveexec_b64 s[2:3], vcc
	s_cbranch_execz .LBB6_23
; %bb.3:
	s_load_dwordx8 s[8:15], s[4:5], 0x28
	s_load_dwordx2 s[2:3], s[4:5], 0x48
	v_mov_b32_e32 v4, v15
	v_alignbit_b32 v31, v3, v2, 2
	s_mov_b32 s19, 0xd2511f53
	s_waitcnt lgkmcnt(0)
	v_pk_mov_b32 v[6:7], s[14:15], s[14:15] op_sel:[0,1]
	v_add_f64 v[16:17], s[2:3], -v[6:7]
	s_mov_b32 s2, 0xdb3d7428
	v_add_co_u32_e32 v23, vcc, s2, v4
	s_mov_b32 s2, 0x5384540f
	v_add_co_u32_e32 v24, vcc, s2, v14
	;; [unrolled: 2-line block ×8, first 2 shown]
	v_mad_u64_u32 v[6:7], s[2:3], v31, s19, 0
	v_and_b32_e32 v20, 3, v2
	v_xor_b32_e32 v2, v7, v15
	v_ashrrev_i32_e32 v32, 31, v1
	v_xor_b32_e32 v2, v2, v32
	s_mov_b32 s20, 0xcd9e8d57
	v_mad_u64_u32 v[8:9], s[2:3], v2, s20, 0
	v_xor_b32_e32 v2, v30, v9
	v_mad_u64_u32 v[10:11], s[2:3], v1, s20, 0
	v_xor_b32_e32 v2, v2, v10
	;; [unrolled: 2-line block ×3, first 2 shown]
	v_lshrrev_b32_e32 v33, 2, v3
	v_xor_b32_e32 v2, v2, v33
	v_xor_b32_e32 v5, v29, v13
	v_mad_u64_u32 v[2:3], s[2:3], v2, s19, 0
	v_xor_b32_e32 v2, v5, v2
	v_mad_u64_u32 v[10:11], s[2:3], v2, s20, 0
	s_mov_b32 s2, 0xbb67ae85
	v_add_co_u32_e32 v34, vcc, s2, v4
	v_xor_b32_e32 v2, v34, v3
	v_xor_b32_e32 v2, v2, v6
	v_xor_b32_e32 v5, v28, v11
	v_mad_u64_u32 v[2:3], s[2:3], v2, s20, 0
	v_xor_b32_e32 v2, v5, v2
	v_mad_u64_u32 v[6:7], s[2:3], v2, s19, 0
	s_mov_b32 s2, 0x3c6ef372
	v_add_co_u32_e32 v35, vcc, s2, v14
	v_xor_b32_e32 v2, v35, v3
	;; [unrolled: 8-line block ×7, first 2 shown]
	v_xor_b32_e32 v2, v2, v12
	v_mad_u64_u32 v[2:3], s[2:3], v2, s20, 0
	s_mov_b32 s2, 0xf1bbcdc8
	v_add_co_u32_e32 v41, vcc, s2, v14
	v_xor_b32_e32 v3, v41, v3
	v_xor_b32_e32 v3, v3, v10
	v_mad_u64_u32 v[10:11], s[2:3], v3, s19, 0
	v_add_u32_e32 v21, 0x8ff34781, v14
	v_add_u32_e32 v22, 0x96a522ad, v15
	v_xor_b32_e32 v2, v9, v2
	v_xor_b32_e32 v3, v11, v6
	s_add_i32 s6, s6, s0
	v_xor_b32_e32 v2, v21, v2
	v_xor_b32_e32 v4, v22, v3
	v_mov_b32_e32 v3, v8
	v_mov_b32_e32 v5, v10
	s_mul_i32 s6, s6, s1
	s_mov_b64 s[0:1], 0
	s_movk_i32 s21, 0x7fff
	v_mov_b32_e32 v42, 0x7fc0
	s_branch .LBB6_6
.LBB6_4:                                ;   in Loop: Header=BB6_6 Depth=1
	s_or_b64 exec, exec, s[4:5]
	v_mov_b32_e32 v5, s9
	v_add_co_u32_e32 v4, vcc, s8, v2
	v_addc_co_u32_e32 v5, vcc, v5, v3, vcc
	global_store_short v[4:5], v11, off
	v_mov_b32_e32 v4, s13
	v_add_co_u32_e32 v2, vcc, s12, v2
	v_addc_co_u32_e32 v3, vcc, v4, v3, vcc
	global_store_short v[2:3], v9, off
.LBB6_5:                                ;   in Loop: Header=BB6_6 Depth=1
	s_or_b64 exec, exec, s[2:3]
	v_add_u32_e32 v0, s16, v0
	v_add_u32_e32 v2, s17, v0
	v_mov_b32_e32 v9, v18
	v_cmp_le_i32_e32 vcc, s18, v2
	v_pk_mov_b32 v[2:3], v[6:7], v[6:7] op_sel:[0,1]
	s_or_b64 s[0:1], vcc, s[0:1]
	v_pk_mov_b32 v[4:5], v[8:9], v[8:9] op_sel:[0,1]
	s_barrier
	s_andn2_b64 exec, exec, s[0:1]
	s_cbranch_execz .LBB6_23
.LBB6_6:                                ; =>This Inner Loop Header: Depth=1
	v_add_co_u32_e32 v31, vcc, 1, v31
	v_cndmask_b32_e64 v6, 0, 1, vcc
	v_addc_co_u32_e32 v33, vcc, 0, v33, vcc
	v_cmp_eq_u32_e32 vcc, 0, v33
	v_cndmask_b32_e32 v6, 0, v6, vcc
	v_add_u32_e32 v1, v6, v1
	v_cmp_eq_u32_e32 vcc, 0, v1
	v_cndmask_b32_e32 v6, 0, v6, vcc
	v_add_u32_e32 v32, v6, v32
	v_mad_u64_u32 v[6:7], s[2:3], v31, s19, 0
	v_mad_u64_u32 v[8:9], s[2:3], v1, s20, 0
	v_xor_b32_e32 v7, v7, v15
	v_xor_b32_e32 v9, v9, v14
	v_xor_b32_e32 v7, v32, v7
	v_xor_b32_e32 v9, v33, v9
	v_mad_u64_u32 v[12:13], s[2:3], v7, s20, 0
	v_mad_u64_u32 v[10:11], s[2:3], v9, s19, 0
	v_xor_b32_e32 v7, v30, v13
	v_xor_b32_e32 v7, v7, v8
	v_xor_b32_e32 v8, v34, v11
	v_xor_b32_e32 v8, v8, v6
	;; [unrolled: 6-line block ×10, first 2 shown]
	v_mov_b32_e32 v7, v12
	v_mov_b32_e32 v8, v13
	v_cmp_lt_i32_e32 vcc, 1, v20
	s_and_saveexec_b64 s[2:3], vcc
	s_xor_b64 s[2:3], exec, s[2:3]
	s_cbranch_execz .LBB6_12
; %bb.7:                                ;   in Loop: Header=BB6_6 Depth=1
	v_cmp_lt_i32_e32 vcc, 2, v20
	s_and_saveexec_b64 s[4:5], vcc
	s_xor_b64 s[4:5], exec, s[4:5]
; %bb.8:                                ;   in Loop: Header=BB6_6 Depth=1
	v_mov_b32_e32 v10, v5
	v_mov_b32_e32 v11, v6
	v_pk_mov_b32 v[2:3], v[10:11], v[10:11] op_sel:[0,1]
	v_pk_mov_b32 v[4:5], v[12:13], v[12:13] op_sel:[0,1]
                                        ; implicit-def: $vgpr12_vgpr13
; %bb.9:                                ;   in Loop: Header=BB6_6 Depth=1
	s_andn2_saveexec_b64 s[4:5], s[4:5]
; %bb.10:                               ;   in Loop: Header=BB6_6 Depth=1
	v_mov_b32_e32 v2, v4
	v_mov_b32_e32 v3, v5
	;; [unrolled: 1-line block ×4, first 2 shown]
; %bb.11:                               ;   in Loop: Header=BB6_6 Depth=1
	s_or_b64 exec, exec, s[4:5]
.LBB6_12:                               ;   in Loop: Header=BB6_6 Depth=1
	s_andn2_saveexec_b64 s[2:3], s[2:3]
	s_cbranch_execz .LBB6_16
; %bb.13:                               ;   in Loop: Header=BB6_6 Depth=1
	v_cmp_eq_u32_e32 vcc, 1, v20
	s_and_saveexec_b64 s[4:5], vcc
; %bb.14:                               ;   in Loop: Header=BB6_6 Depth=1
	v_mov_b32_e32 v2, v3
	v_mov_b32_e32 v3, v4
	;; [unrolled: 1-line block ×4, first 2 shown]
; %bb.15:                               ;   in Loop: Header=BB6_6 Depth=1
	s_or_b64 exec, exec, s[4:5]
.LBB6_16:                               ;   in Loop: Header=BB6_6 Depth=1
	s_or_b64 exec, exec, s[2:3]
	v_add_u32_e32 v10, s17, v0
	v_cmp_gt_i32_e32 vcc, s7, v10
	s_and_saveexec_b64 s[2:3], vcc
	s_cbranch_execz .LBB6_20
; %bb.17:                               ;   in Loop: Header=BB6_6 Depth=1
	v_ashrrev_i32_e32 v11, 31, v10
	v_lshlrev_b64 v[10:11], 1, v[10:11]
	v_mov_b32_e32 v9, s11
	v_add_co_u32_e32 v12, vcc, s10, v10
	v_addc_co_u32_e32 v13, vcc, v9, v11, vcc
	global_load_ushort v13, v[12:13], off
	v_mov_b32_e32 v9, 0x3f80
	s_waitcnt vmcnt(0)
	v_lshlrev_b32_e32 v12, 16, v13
	v_cmp_ge_f32_e32 vcc, 0, v12
	s_and_saveexec_b64 s[4:5], vcc
	s_cbranch_execz .LBB6_19
; %bb.18:                               ;   in Loop: Header=BB6_6 Depth=1
	v_lshrrev_b32_e32 v3, 11, v3
	v_cvt_f64_u32_e32 v[44:45], v3
	v_ldexp_f64 v[44:45], v[44:45], 32
	v_cvt_f64_u32_e32 v[2:3], v2
	v_add_f64 v[2:3], v[44:45], v[2:3]
	v_mov_b32_e32 v44, 0
	v_mov_b32_e32 v45, 0x3ca00000
	v_fmac_f64_e32 v[44:45], 0x3ca00000, v[2:3]
	v_cvt_f32_f64_e32 v2, v[44:45]
	v_bfe_u32 v3, v2, 16, 1
	v_add3_u32 v2, v2, v3, s21
	v_and_b32_e32 v2, 0xffff0000, v2
	v_cvt_f64_f32_e32 v[2:3], v2
	v_fma_f64 v[2:3], v[16:17], v[2:3], s[14:15]
	v_cvt_f32_f64_e32 v2, v[2:3]
	v_bfe_u32 v3, v2, 16, 1
	v_add3_u32 v3, v2, v3, s21
	v_lshrrev_b32_e32 v3, 16, v3
	v_cmp_o_f32_e32 vcc, v2, v2
	v_cndmask_b32_e32 v9, v42, v3, vcc
	v_lshlrev_b32_e32 v2, 16, v9
	v_mul_f32_e32 v2, v12, v2
	v_bfe_u32 v3, v2, 16, 1
	v_add3_u32 v3, v2, v3, s21
	v_lshrrev_b32_e32 v3, 16, v3
	v_cmp_o_f32_e32 vcc, v2, v2
	v_cndmask_b32_e32 v13, v42, v3, vcc
.LBB6_19:                               ;   in Loop: Header=BB6_6 Depth=1
	s_or_b64 exec, exec, s[4:5]
	v_mov_b32_e32 v3, s9
	v_add_co_u32_e32 v2, vcc, s8, v10
	v_addc_co_u32_e32 v3, vcc, v3, v11, vcc
	global_store_short v[2:3], v13, off
	v_mov_b32_e32 v3, s13
	v_add_co_u32_e32 v2, vcc, s12, v10
	v_addc_co_u32_e32 v3, vcc, v3, v11, vcc
	global_store_short v[2:3], v9, off
.LBB6_20:                               ;   in Loop: Header=BB6_6 Depth=1
	s_or_b64 exec, exec, s[2:3]
	v_add_u32_e32 v2, s6, v0
	v_cmp_gt_i32_e32 vcc, s7, v2
	s_and_saveexec_b64 s[2:3], vcc
	s_cbranch_execz .LBB6_5
; %bb.21:                               ;   in Loop: Header=BB6_6 Depth=1
	v_ashrrev_i32_e32 v3, 31, v2
	v_lshlrev_b64 v[2:3], 1, v[2:3]
	v_mov_b32_e32 v9, s11
	v_add_co_u32_e32 v10, vcc, s10, v2
	v_addc_co_u32_e32 v11, vcc, v9, v3, vcc
	global_load_ushort v11, v[10:11], off
	v_mov_b32_e32 v9, 0x3f80
	s_waitcnt vmcnt(0)
	v_lshlrev_b32_e32 v10, 16, v11
	v_cmp_ge_f32_e32 vcc, 0, v10
	s_and_saveexec_b64 s[4:5], vcc
	s_cbranch_execz .LBB6_4
; %bb.22:                               ;   in Loop: Header=BB6_6 Depth=1
	v_lshrrev_b32_e32 v5, 11, v5
	v_cvt_f64_u32_e32 v[12:13], v5
	v_ldexp_f64 v[12:13], v[12:13], 32
	v_cvt_f64_u32_e32 v[4:5], v4
	v_add_f64 v[4:5], v[12:13], v[4:5]
	v_mov_b32_e32 v12, 0
	v_mov_b32_e32 v13, 0x3ca00000
	v_fmac_f64_e32 v[12:13], 0x3ca00000, v[4:5]
	v_cvt_f32_f64_e32 v4, v[12:13]
	v_bfe_u32 v5, v4, 16, 1
	v_add3_u32 v4, v4, v5, s21
	v_and_b32_e32 v4, 0xffff0000, v4
	v_cvt_f64_f32_e32 v[4:5], v4
	v_fma_f64 v[4:5], v[16:17], v[4:5], s[14:15]
	v_cvt_f32_f64_e32 v4, v[4:5]
	v_bfe_u32 v5, v4, 16, 1
	v_add3_u32 v5, v4, v5, s21
	v_lshrrev_b32_e32 v5, 16, v5
	v_cmp_o_f32_e32 vcc, v4, v4
	v_cndmask_b32_e32 v9, v42, v5, vcc
	v_lshlrev_b32_e32 v4, 16, v9
	v_mul_f32_e32 v4, v10, v4
	v_bfe_u32 v5, v4, 16, 1
	v_add3_u32 v5, v4, v5, s21
	v_lshrrev_b32_e32 v5, 16, v5
	v_cmp_o_f32_e32 vcc, v4, v4
	v_cndmask_b32_e32 v11, v42, v5, vcc
	s_branch .LBB6_4
.LBB6_23:
	s_endpgm
	.section	.rodata,"a",@progbits
	.p2align	6, 0x0
	.amdhsa_kernel _ZN2at6native28rrelu_with_noise_cuda_kernelIN3c108BFloat16ELi2EZNS0_28_rrelu_with_noise_cuda_trainIS3_EEvRNS_6TensorERKS5_S6_RKNS2_6ScalarESB_St8optionalINS_9GeneratorEEEUlP25hiprandStatePhilox4_32_10E_EEviNS_15PhiloxCudaStateEPT_PKSJ_SK_ddRKT1_
		.amdhsa_group_segment_fixed_size 0
		.amdhsa_private_segment_fixed_size 0
		.amdhsa_kernarg_size 344
		.amdhsa_user_sgpr_count 6
		.amdhsa_user_sgpr_private_segment_buffer 1
		.amdhsa_user_sgpr_dispatch_ptr 0
		.amdhsa_user_sgpr_queue_ptr 0
		.amdhsa_user_sgpr_kernarg_segment_ptr 1
		.amdhsa_user_sgpr_dispatch_id 0
		.amdhsa_user_sgpr_flat_scratch_init 0
		.amdhsa_user_sgpr_kernarg_preload_length 0
		.amdhsa_user_sgpr_kernarg_preload_offset 0
		.amdhsa_user_sgpr_private_segment_size 0
		.amdhsa_uses_dynamic_stack 0
		.amdhsa_system_sgpr_private_segment_wavefront_offset 0
		.amdhsa_system_sgpr_workgroup_id_x 1
		.amdhsa_system_sgpr_workgroup_id_y 0
		.amdhsa_system_sgpr_workgroup_id_z 0
		.amdhsa_system_sgpr_workgroup_info 0
		.amdhsa_system_vgpr_workitem_id 0
		.amdhsa_next_free_vgpr 46
		.amdhsa_next_free_sgpr 22
		.amdhsa_accum_offset 48
		.amdhsa_reserve_vcc 1
		.amdhsa_reserve_flat_scratch 0
		.amdhsa_float_round_mode_32 0
		.amdhsa_float_round_mode_16_64 0
		.amdhsa_float_denorm_mode_32 3
		.amdhsa_float_denorm_mode_16_64 3
		.amdhsa_dx10_clamp 1
		.amdhsa_ieee_mode 1
		.amdhsa_fp16_overflow 0
		.amdhsa_tg_split 0
		.amdhsa_exception_fp_ieee_invalid_op 0
		.amdhsa_exception_fp_denorm_src 0
		.amdhsa_exception_fp_ieee_div_zero 0
		.amdhsa_exception_fp_ieee_overflow 0
		.amdhsa_exception_fp_ieee_underflow 0
		.amdhsa_exception_fp_ieee_inexact 0
		.amdhsa_exception_int_div_zero 0
	.end_amdhsa_kernel
	.section	.text._ZN2at6native28rrelu_with_noise_cuda_kernelIN3c108BFloat16ELi2EZNS0_28_rrelu_with_noise_cuda_trainIS3_EEvRNS_6TensorERKS5_S6_RKNS2_6ScalarESB_St8optionalINS_9GeneratorEEEUlP25hiprandStatePhilox4_32_10E_EEviNS_15PhiloxCudaStateEPT_PKSJ_SK_ddRKT1_,"axG",@progbits,_ZN2at6native28rrelu_with_noise_cuda_kernelIN3c108BFloat16ELi2EZNS0_28_rrelu_with_noise_cuda_trainIS3_EEvRNS_6TensorERKS5_S6_RKNS2_6ScalarESB_St8optionalINS_9GeneratorEEEUlP25hiprandStatePhilox4_32_10E_EEviNS_15PhiloxCudaStateEPT_PKSJ_SK_ddRKT1_,comdat
.Lfunc_end6:
	.size	_ZN2at6native28rrelu_with_noise_cuda_kernelIN3c108BFloat16ELi2EZNS0_28_rrelu_with_noise_cuda_trainIS3_EEvRNS_6TensorERKS5_S6_RKNS2_6ScalarESB_St8optionalINS_9GeneratorEEEUlP25hiprandStatePhilox4_32_10E_EEviNS_15PhiloxCudaStateEPT_PKSJ_SK_ddRKT1_, .Lfunc_end6-_ZN2at6native28rrelu_with_noise_cuda_kernelIN3c108BFloat16ELi2EZNS0_28_rrelu_with_noise_cuda_trainIS3_EEvRNS_6TensorERKS5_S6_RKNS2_6ScalarESB_St8optionalINS_9GeneratorEEEUlP25hiprandStatePhilox4_32_10E_EEviNS_15PhiloxCudaStateEPT_PKSJ_SK_ddRKT1_
                                        ; -- End function
	.section	.AMDGPU.csdata,"",@progbits
; Kernel info:
; codeLenInByte = 2028
; NumSgprs: 26
; NumVgprs: 46
; NumAgprs: 0
; TotalNumVgprs: 46
; ScratchSize: 0
; MemoryBound: 0
; FloatMode: 240
; IeeeMode: 1
; LDSByteSize: 0 bytes/workgroup (compile time only)
; SGPRBlocks: 3
; VGPRBlocks: 5
; NumSGPRsForWavesPerEU: 26
; NumVGPRsForWavesPerEU: 46
; AccumOffset: 48
; Occupancy: 8
; WaveLimiterHint : 0
; COMPUTE_PGM_RSRC2:SCRATCH_EN: 0
; COMPUTE_PGM_RSRC2:USER_SGPR: 6
; COMPUTE_PGM_RSRC2:TRAP_HANDLER: 0
; COMPUTE_PGM_RSRC2:TGID_X_EN: 1
; COMPUTE_PGM_RSRC2:TGID_Y_EN: 0
; COMPUTE_PGM_RSRC2:TGID_Z_EN: 0
; COMPUTE_PGM_RSRC2:TIDIG_COMP_CNT: 0
; COMPUTE_PGM_RSRC3_GFX90A:ACCUM_OFFSET: 11
; COMPUTE_PGM_RSRC3_GFX90A:TG_SPLIT: 0
	.section	.text._ZN2at6native28rrelu_with_noise_cuda_kernelIN3c108BFloat16ELi4EZNS0_28_rrelu_with_noise_cuda_trainIS3_EEvRNS_6TensorERKS5_S6_RKNS2_6ScalarESB_St8optionalINS_9GeneratorEEEUlP25hiprandStatePhilox4_32_10E0_EEviNS_15PhiloxCudaStateEPT_PKSJ_SK_ddRKT1_,"axG",@progbits,_ZN2at6native28rrelu_with_noise_cuda_kernelIN3c108BFloat16ELi4EZNS0_28_rrelu_with_noise_cuda_trainIS3_EEvRNS_6TensorERKS5_S6_RKNS2_6ScalarESB_St8optionalINS_9GeneratorEEEUlP25hiprandStatePhilox4_32_10E0_EEviNS_15PhiloxCudaStateEPT_PKSJ_SK_ddRKT1_,comdat
	.protected	_ZN2at6native28rrelu_with_noise_cuda_kernelIN3c108BFloat16ELi4EZNS0_28_rrelu_with_noise_cuda_trainIS3_EEvRNS_6TensorERKS5_S6_RKNS2_6ScalarESB_St8optionalINS_9GeneratorEEEUlP25hiprandStatePhilox4_32_10E0_EEviNS_15PhiloxCudaStateEPT_PKSJ_SK_ddRKT1_ ; -- Begin function _ZN2at6native28rrelu_with_noise_cuda_kernelIN3c108BFloat16ELi4EZNS0_28_rrelu_with_noise_cuda_trainIS3_EEvRNS_6TensorERKS5_S6_RKNS2_6ScalarESB_St8optionalINS_9GeneratorEEEUlP25hiprandStatePhilox4_32_10E0_EEviNS_15PhiloxCudaStateEPT_PKSJ_SK_ddRKT1_
	.globl	_ZN2at6native28rrelu_with_noise_cuda_kernelIN3c108BFloat16ELi4EZNS0_28_rrelu_with_noise_cuda_trainIS3_EEvRNS_6TensorERKS5_S6_RKNS2_6ScalarESB_St8optionalINS_9GeneratorEEEUlP25hiprandStatePhilox4_32_10E0_EEviNS_15PhiloxCudaStateEPT_PKSJ_SK_ddRKT1_
	.p2align	8
	.type	_ZN2at6native28rrelu_with_noise_cuda_kernelIN3c108BFloat16ELi4EZNS0_28_rrelu_with_noise_cuda_trainIS3_EEvRNS_6TensorERKS5_S6_RKNS2_6ScalarESB_St8optionalINS_9GeneratorEEEUlP25hiprandStatePhilox4_32_10E0_EEviNS_15PhiloxCudaStateEPT_PKSJ_SK_ddRKT1_,@function
_ZN2at6native28rrelu_with_noise_cuda_kernelIN3c108BFloat16ELi4EZNS0_28_rrelu_with_noise_cuda_trainIS3_EEvRNS_6TensorERKS5_S6_RKNS2_6ScalarESB_St8optionalINS_9GeneratorEEEUlP25hiprandStatePhilox4_32_10E0_EEviNS_15PhiloxCudaStateEPT_PKSJ_SK_ddRKT1_: ; @_ZN2at6native28rrelu_with_noise_cuda_kernelIN3c108BFloat16ELi4EZNS0_28_rrelu_with_noise_cuda_trainIS3_EEvRNS_6TensorERKS5_S6_RKNS2_6ScalarESB_St8optionalINS_9GeneratorEEEUlP25hiprandStatePhilox4_32_10E0_EEviNS_15PhiloxCudaStateEPT_PKSJ_SK_ddRKT1_
; %bb.0:
	s_load_dword s7, s[4:5], 0x20
	s_load_dwordx4 s[0:3], s[4:5], 0x8
	s_waitcnt lgkmcnt(0)
	s_bitcmp0_b32 s7, 0
	v_pk_mov_b32 v[2:3], s[2:3], s[2:3] op_sel:[0,1]
	v_pk_mov_b32 v[14:15], s[0:1], s[0:1] op_sel:[0,1]
	s_cbranch_scc1 .LBB7_2
; %bb.1:
	v_pk_mov_b32 v[2:3], s[2:3], s[2:3] op_sel:[0,1]
	flat_load_dwordx2 v[2:3], v[2:3]
	v_pk_mov_b32 v[4:5], s[0:1], s[0:1] op_sel:[0,1]
	flat_load_dwordx2 v[14:15], v[4:5]
	s_load_dwordx2 s[0:1], s[4:5], 0x18
	s_waitcnt lgkmcnt(0)
	v_mov_b32_e32 v1, s1
	s_waitcnt vmcnt(0)
	v_add_co_u32_e32 v2, vcc, s0, v2
	v_addc_co_u32_e32 v3, vcc, v3, v1, vcc
.LBB7_2:
	s_load_dword s1, s[4:5], 0x64
	s_load_dword s0, s[4:5], 0x58
	s_load_dword s7, s[4:5], 0x0
	s_waitcnt lgkmcnt(0)
	s_and_b32 s1, s1, 0xffff
	s_mul_i32 s2, s0, s1
	s_lshl_b32 s16, s2, 2
	s_abs_i32 s2, s16
	v_cvt_f32_u32_e32 v1, s2
	s_sub_i32 s9, 0, s2
	s_add_i32 s3, s7, -1
	s_abs_i32 s8, s3
	v_rcp_iflag_f32_e32 v4, v1
	s_xor_b32 s3, s3, s16
	s_ashr_i32 s3, s3, 31
	s_mul_i32 s17, s6, s1
	v_mul_f32_e32 v4, 0x4f7ffffe, v4
	v_cvt_u32_f32_e32 v4, v4
	v_add_u32_e32 v1, s17, v0
	v_readfirstlane_b32 s10, v4
	s_mul_i32 s9, s9, s10
	s_mul_hi_u32 s9, s10, s9
	s_add_i32 s10, s10, s9
	s_mul_hi_u32 s9, s8, s10
	s_mul_i32 s10, s9, s2
	s_sub_i32 s8, s8, s10
	s_add_i32 s11, s9, 1
	s_sub_i32 s10, s8, s2
	s_cmp_ge_u32 s8, s2
	s_cselect_b32 s9, s11, s9
	s_cselect_b32 s8, s10, s8
	s_add_i32 s10, s9, 1
	s_cmp_ge_u32 s8, s2
	s_cselect_b32 s2, s10, s9
	s_xor_b32 s2, s2, s3
	s_sub_i32 s2, s2, s3
	s_add_i32 s2, s2, 1
	s_mul_i32 s18, s16, s2
	v_cmp_gt_i32_e32 vcc, s18, v1
	s_and_saveexec_b64 s[2:3], vcc
	s_cbranch_execz .LBB7_31
; %bb.3:
	s_load_dwordx8 s[8:15], s[4:5], 0x28
	s_load_dwordx2 s[2:3], s[4:5], 0x48
	v_mov_b32_e32 v4, v15
	v_alignbit_b32 v31, v3, v2, 2
	s_mov_b32 s19, 0xd2511f53
	s_waitcnt lgkmcnt(0)
	v_pk_mov_b32 v[6:7], s[14:15], s[14:15] op_sel:[0,1]
	v_add_f64 v[16:17], s[2:3], -v[6:7]
	s_mov_b32 s2, 0xdb3d7428
	v_add_co_u32_e32 v23, vcc, s2, v4
	s_mov_b32 s2, 0x5384540f
	v_add_co_u32_e32 v24, vcc, s2, v14
	;; [unrolled: 2-line block ×8, first 2 shown]
	v_mad_u64_u32 v[6:7], s[2:3], v31, s19, 0
	v_and_b32_e32 v20, 3, v2
	v_xor_b32_e32 v2, v7, v15
	v_ashrrev_i32_e32 v32, 31, v1
	v_xor_b32_e32 v2, v2, v32
	s_mov_b32 s20, 0xcd9e8d57
	v_mad_u64_u32 v[8:9], s[2:3], v2, s20, 0
	v_xor_b32_e32 v2, v30, v9
	v_mad_u64_u32 v[10:11], s[2:3], v1, s20, 0
	v_xor_b32_e32 v2, v2, v10
	;; [unrolled: 2-line block ×3, first 2 shown]
	v_lshrrev_b32_e32 v33, 2, v3
	v_xor_b32_e32 v2, v2, v33
	v_xor_b32_e32 v5, v29, v13
	v_mad_u64_u32 v[2:3], s[2:3], v2, s19, 0
	v_xor_b32_e32 v2, v5, v2
	v_mad_u64_u32 v[10:11], s[2:3], v2, s20, 0
	s_mov_b32 s2, 0xbb67ae85
	v_add_co_u32_e32 v34, vcc, s2, v4
	v_xor_b32_e32 v2, v34, v3
	v_xor_b32_e32 v2, v2, v6
	v_xor_b32_e32 v5, v28, v11
	v_mad_u64_u32 v[2:3], s[2:3], v2, s20, 0
	v_xor_b32_e32 v2, v5, v2
	v_mad_u64_u32 v[6:7], s[2:3], v2, s19, 0
	s_mov_b32 s2, 0x3c6ef372
	v_add_co_u32_e32 v35, vcc, s2, v14
	v_xor_b32_e32 v2, v35, v3
	;; [unrolled: 8-line block ×7, first 2 shown]
	v_xor_b32_e32 v2, v2, v12
	v_mad_u64_u32 v[2:3], s[2:3], v2, s20, 0
	s_mov_b32 s2, 0xf1bbcdc8
	v_add_co_u32_e32 v41, vcc, s2, v14
	v_xor_b32_e32 v3, v41, v3
	v_xor_b32_e32 v3, v3, v10
	v_mad_u64_u32 v[10:11], s[2:3], v3, s19, 0
	s_lshl_b32 s2, s0, 1
	s_add_i32 s21, s6, s2
	s_mul_i32 s2, s0, 3
	v_add_u32_e32 v21, 0x8ff34781, v14
	v_add_u32_e32 v22, 0x96a522ad, v15
	v_xor_b32_e32 v2, v9, v2
	v_xor_b32_e32 v3, v11, v6
	s_add_i32 s22, s6, s2
	s_add_i32 s6, s6, s0
	v_xor_b32_e32 v2, v21, v2
	v_xor_b32_e32 v4, v22, v3
	v_mov_b32_e32 v3, v8
	v_mov_b32_e32 v5, v10
	s_mul_i32 s21, s21, s1
	s_mul_i32 s22, s22, s1
	s_mul_i32 s6, s6, s1
	s_mov_b64 s[0:1], 0
	s_movk_i32 s23, 0x7fff
	v_mov_b32_e32 v42, 0x7fc0
	s_branch .LBB7_6
.LBB7_4:                                ;   in Loop: Header=BB7_6 Depth=1
	s_or_b64 exec, exec, s[4:5]
	v_mov_b32_e32 v5, s9
	v_add_co_u32_e32 v12, vcc, s8, v2
	v_addc_co_u32_e32 v13, vcc, v5, v3, vcc
	v_mov_b32_e32 v5, s13
	v_add_co_u32_e32 v2, vcc, s12, v2
	v_addc_co_u32_e32 v3, vcc, v5, v3, vcc
	global_store_short v[12:13], v10, off
	global_store_short v[2:3], v4, off
.LBB7_5:                                ;   in Loop: Header=BB7_6 Depth=1
	s_or_b64 exec, exec, s[2:3]
	v_add_u32_e32 v0, s16, v0
	v_add_u32_e32 v2, s17, v0
	v_mov_b32_e32 v9, v18
	v_cmp_le_i32_e32 vcc, s18, v2
	v_pk_mov_b32 v[2:3], v[6:7], v[6:7] op_sel:[0,1]
	s_or_b64 s[0:1], vcc, s[0:1]
	v_pk_mov_b32 v[4:5], v[8:9], v[8:9] op_sel:[0,1]
	s_barrier
	s_andn2_b64 exec, exec, s[0:1]
	s_cbranch_execz .LBB7_31
.LBB7_6:                                ; =>This Inner Loop Header: Depth=1
	v_add_co_u32_e32 v31, vcc, 1, v31
	v_cndmask_b32_e64 v6, 0, 1, vcc
	v_addc_co_u32_e32 v33, vcc, 0, v33, vcc
	v_cmp_eq_u32_e32 vcc, 0, v33
	v_cndmask_b32_e32 v6, 0, v6, vcc
	v_add_u32_e32 v1, v6, v1
	v_cmp_eq_u32_e32 vcc, 0, v1
	v_cndmask_b32_e32 v6, 0, v6, vcc
	v_add_u32_e32 v32, v6, v32
	v_mad_u64_u32 v[6:7], s[2:3], v31, s19, 0
	v_mad_u64_u32 v[8:9], s[2:3], v1, s20, 0
	v_xor_b32_e32 v7, v7, v15
	v_xor_b32_e32 v9, v9, v14
	v_xor_b32_e32 v7, v32, v7
	v_xor_b32_e32 v9, v33, v9
	v_mad_u64_u32 v[12:13], s[2:3], v7, s20, 0
	v_mad_u64_u32 v[10:11], s[2:3], v9, s19, 0
	v_xor_b32_e32 v7, v30, v13
	v_xor_b32_e32 v7, v7, v8
	v_xor_b32_e32 v8, v34, v11
	v_xor_b32_e32 v8, v8, v6
	;; [unrolled: 6-line block ×10, first 2 shown]
	v_mov_b32_e32 v7, v12
	v_mov_b32_e32 v8, v13
	v_cmp_lt_i32_e32 vcc, 1, v20
	s_and_saveexec_b64 s[2:3], vcc
	s_xor_b64 s[2:3], exec, s[2:3]
	s_cbranch_execz .LBB7_12
; %bb.7:                                ;   in Loop: Header=BB7_6 Depth=1
	v_cmp_lt_i32_e32 vcc, 2, v20
	s_and_saveexec_b64 s[4:5], vcc
	s_xor_b64 s[4:5], exec, s[4:5]
; %bb.8:                                ;   in Loop: Header=BB7_6 Depth=1
	v_mov_b32_e32 v10, v5
	v_mov_b32_e32 v11, v6
	v_pk_mov_b32 v[2:3], v[10:11], v[10:11] op_sel:[0,1]
	v_pk_mov_b32 v[4:5], v[12:13], v[12:13] op_sel:[0,1]
                                        ; implicit-def: $vgpr12_vgpr13
; %bb.9:                                ;   in Loop: Header=BB7_6 Depth=1
	s_andn2_saveexec_b64 s[4:5], s[4:5]
; %bb.10:                               ;   in Loop: Header=BB7_6 Depth=1
	v_mov_b32_e32 v2, v4
	v_mov_b32_e32 v3, v5
	v_mov_b32_e32 v4, v6
	v_mov_b32_e32 v5, v12
; %bb.11:                               ;   in Loop: Header=BB7_6 Depth=1
	s_or_b64 exec, exec, s[4:5]
.LBB7_12:                               ;   in Loop: Header=BB7_6 Depth=1
	s_andn2_saveexec_b64 s[2:3], s[2:3]
	s_cbranch_execz .LBB7_16
; %bb.13:                               ;   in Loop: Header=BB7_6 Depth=1
	v_cmp_eq_u32_e32 vcc, 1, v20
	s_and_saveexec_b64 s[4:5], vcc
; %bb.14:                               ;   in Loop: Header=BB7_6 Depth=1
	v_mov_b32_e32 v2, v3
	v_mov_b32_e32 v3, v4
	;; [unrolled: 1-line block ×4, first 2 shown]
; %bb.15:                               ;   in Loop: Header=BB7_6 Depth=1
	s_or_b64 exec, exec, s[4:5]
.LBB7_16:                               ;   in Loop: Header=BB7_6 Depth=1
	s_or_b64 exec, exec, s[2:3]
	v_add_u32_e32 v10, s17, v0
	v_cmp_gt_i32_e32 vcc, s7, v10
	s_and_saveexec_b64 s[2:3], vcc
	s_cbranch_execz .LBB7_20
; %bb.17:                               ;   in Loop: Header=BB7_6 Depth=1
	v_ashrrev_i32_e32 v11, 31, v10
	v_lshlrev_b64 v[10:11], 1, v[10:11]
	v_mov_b32_e32 v9, s11
	v_add_co_u32_e32 v12, vcc, s10, v10
	v_addc_co_u32_e32 v13, vcc, v9, v11, vcc
	global_load_ushort v13, v[12:13], off
	v_mov_b32_e32 v9, 0x3f80
	s_waitcnt vmcnt(0)
	v_lshlrev_b32_e32 v12, 16, v13
	v_cmp_ge_f32_e32 vcc, 0, v12
	s_and_saveexec_b64 s[4:5], vcc
	s_cbranch_execz .LBB7_19
; %bb.18:                               ;   in Loop: Header=BB7_6 Depth=1
	v_cvt_f32_u32_e32 v2, v2
	v_mov_b32_e32 v9, 0x2f800000
	v_fmac_f32_e32 v9, 0x2f800000, v2
	v_bfe_u32 v2, v9, 16, 1
	v_add3_u32 v2, v9, v2, s23
	v_and_b32_e32 v2, 0xffff0000, v2
	v_cvt_f64_f32_e32 v[44:45], v2
	v_fma_f64 v[44:45], v[16:17], v[44:45], s[14:15]
	v_cvt_f32_f64_e32 v2, v[44:45]
	v_bfe_u32 v9, v2, 16, 1
	v_add3_u32 v9, v2, v9, s23
	v_lshrrev_b32_e32 v9, 16, v9
	v_cmp_o_f32_e32 vcc, v2, v2
	v_cndmask_b32_e32 v9, v42, v9, vcc
	v_lshlrev_b32_e32 v2, 16, v9
	v_mul_f32_e32 v2, v12, v2
	v_bfe_u32 v12, v2, 16, 1
	v_add3_u32 v12, v2, v12, s23
	v_lshrrev_b32_e32 v12, 16, v12
	v_cmp_o_f32_e32 vcc, v2, v2
	v_cndmask_b32_e32 v13, v42, v12, vcc
.LBB7_19:                               ;   in Loop: Header=BB7_6 Depth=1
	s_or_b64 exec, exec, s[4:5]
	v_mov_b32_e32 v2, s9
	v_add_co_u32_e32 v44, vcc, s8, v10
	v_addc_co_u32_e32 v45, vcc, v2, v11, vcc
	v_mov_b32_e32 v2, s13
	v_add_co_u32_e32 v10, vcc, s12, v10
	v_addc_co_u32_e32 v11, vcc, v2, v11, vcc
	global_store_short v[44:45], v13, off
	global_store_short v[10:11], v9, off
.LBB7_20:                               ;   in Loop: Header=BB7_6 Depth=1
	s_or_b64 exec, exec, s[2:3]
	v_add_u32_e32 v10, s6, v0
	v_cmp_gt_i32_e32 vcc, s7, v10
	s_and_saveexec_b64 s[2:3], vcc
	s_cbranch_execz .LBB7_24
; %bb.21:                               ;   in Loop: Header=BB7_6 Depth=1
	v_ashrrev_i32_e32 v11, 31, v10
	v_lshlrev_b64 v[10:11], 1, v[10:11]
	v_mov_b32_e32 v2, s11
	v_add_co_u32_e32 v12, vcc, s10, v10
	v_addc_co_u32_e32 v13, vcc, v2, v11, vcc
	global_load_ushort v12, v[12:13], off
	v_mov_b32_e32 v2, 0x3f80
	s_waitcnt vmcnt(0)
	v_lshlrev_b32_e32 v9, 16, v12
	v_cmp_ge_f32_e32 vcc, 0, v9
	s_and_saveexec_b64 s[4:5], vcc
	s_cbranch_execz .LBB7_23
; %bb.22:                               ;   in Loop: Header=BB7_6 Depth=1
	v_cvt_f32_u32_e32 v2, v3
	v_mov_b32_e32 v3, 0x2f800000
	v_fmac_f32_e32 v3, 0x2f800000, v2
	v_bfe_u32 v2, v3, 16, 1
	v_add3_u32 v2, v3, v2, s23
	v_and_b32_e32 v2, 0xffff0000, v2
	v_cvt_f64_f32_e32 v[2:3], v2
	v_fma_f64 v[2:3], v[16:17], v[2:3], s[14:15]
	v_cvt_f32_f64_e32 v2, v[2:3]
	v_bfe_u32 v3, v2, 16, 1
	v_add3_u32 v3, v2, v3, s23
	v_lshrrev_b32_e32 v3, 16, v3
	v_cmp_o_f32_e32 vcc, v2, v2
	v_cndmask_b32_e32 v2, v42, v3, vcc
	v_lshlrev_b32_e32 v3, 16, v2
	v_mul_f32_e32 v3, v9, v3
	v_bfe_u32 v9, v3, 16, 1
	v_add3_u32 v9, v3, v9, s23
	v_lshrrev_b32_e32 v9, 16, v9
	v_cmp_o_f32_e32 vcc, v3, v3
	v_cndmask_b32_e32 v12, v42, v9, vcc
.LBB7_23:                               ;   in Loop: Header=BB7_6 Depth=1
	s_or_b64 exec, exec, s[4:5]
	v_mov_b32_e32 v3, s9
	v_add_co_u32_e32 v44, vcc, s8, v10
	v_addc_co_u32_e32 v45, vcc, v3, v11, vcc
	v_mov_b32_e32 v3, s13
	v_add_co_u32_e32 v10, vcc, s12, v10
	v_addc_co_u32_e32 v11, vcc, v3, v11, vcc
	global_store_short v[44:45], v12, off
	global_store_short v[10:11], v2, off
.LBB7_24:                               ;   in Loop: Header=BB7_6 Depth=1
	;; [unrolled: 51-line block ×3, first 2 shown]
	s_or_b64 exec, exec, s[2:3]
	v_add_u32_e32 v2, s22, v0
	v_cmp_gt_i32_e32 vcc, s7, v2
	s_and_saveexec_b64 s[2:3], vcc
	s_cbranch_execz .LBB7_5
; %bb.29:                               ;   in Loop: Header=BB7_6 Depth=1
	v_ashrrev_i32_e32 v3, 31, v2
	v_lshlrev_b64 v[2:3], 1, v[2:3]
	v_mov_b32_e32 v4, s11
	v_add_co_u32_e32 v10, vcc, s10, v2
	v_addc_co_u32_e32 v11, vcc, v4, v3, vcc
	global_load_ushort v10, v[10:11], off
	v_mov_b32_e32 v4, 0x3f80
	s_waitcnt vmcnt(0)
	v_lshlrev_b32_e32 v9, 16, v10
	v_cmp_ge_f32_e32 vcc, 0, v9
	s_and_saveexec_b64 s[4:5], vcc
	s_cbranch_execz .LBB7_4
; %bb.30:                               ;   in Loop: Header=BB7_6 Depth=1
	v_cvt_f32_u32_e32 v4, v5
	v_mov_b32_e32 v5, 0x2f800000
	v_fmac_f32_e32 v5, 0x2f800000, v4
	v_bfe_u32 v4, v5, 16, 1
	v_add3_u32 v4, v5, v4, s23
	v_and_b32_e32 v4, 0xffff0000, v4
	v_cvt_f64_f32_e32 v[4:5], v4
	v_fma_f64 v[4:5], v[16:17], v[4:5], s[14:15]
	v_cvt_f32_f64_e32 v4, v[4:5]
	v_bfe_u32 v5, v4, 16, 1
	v_add3_u32 v5, v4, v5, s23
	v_lshrrev_b32_e32 v5, 16, v5
	v_cmp_o_f32_e32 vcc, v4, v4
	v_cndmask_b32_e32 v4, v42, v5, vcc
	v_lshlrev_b32_e32 v5, 16, v4
	v_mul_f32_e32 v5, v9, v5
	v_bfe_u32 v9, v5, 16, 1
	v_add3_u32 v9, v5, v9, s23
	v_lshrrev_b32_e32 v9, 16, v9
	v_cmp_o_f32_e32 vcc, v5, v5
	v_cndmask_b32_e32 v10, v42, v9, vcc
	s_branch .LBB7_4
.LBB7_31:
	s_endpgm
	.section	.rodata,"a",@progbits
	.p2align	6, 0x0
	.amdhsa_kernel _ZN2at6native28rrelu_with_noise_cuda_kernelIN3c108BFloat16ELi4EZNS0_28_rrelu_with_noise_cuda_trainIS3_EEvRNS_6TensorERKS5_S6_RKNS2_6ScalarESB_St8optionalINS_9GeneratorEEEUlP25hiprandStatePhilox4_32_10E0_EEviNS_15PhiloxCudaStateEPT_PKSJ_SK_ddRKT1_
		.amdhsa_group_segment_fixed_size 0
		.amdhsa_private_segment_fixed_size 0
		.amdhsa_kernarg_size 344
		.amdhsa_user_sgpr_count 6
		.amdhsa_user_sgpr_private_segment_buffer 1
		.amdhsa_user_sgpr_dispatch_ptr 0
		.amdhsa_user_sgpr_queue_ptr 0
		.amdhsa_user_sgpr_kernarg_segment_ptr 1
		.amdhsa_user_sgpr_dispatch_id 0
		.amdhsa_user_sgpr_flat_scratch_init 0
		.amdhsa_user_sgpr_kernarg_preload_length 0
		.amdhsa_user_sgpr_kernarg_preload_offset 0
		.amdhsa_user_sgpr_private_segment_size 0
		.amdhsa_uses_dynamic_stack 0
		.amdhsa_system_sgpr_private_segment_wavefront_offset 0
		.amdhsa_system_sgpr_workgroup_id_x 1
		.amdhsa_system_sgpr_workgroup_id_y 0
		.amdhsa_system_sgpr_workgroup_id_z 0
		.amdhsa_system_sgpr_workgroup_info 0
		.amdhsa_system_vgpr_workitem_id 0
		.amdhsa_next_free_vgpr 46
		.amdhsa_next_free_sgpr 24
		.amdhsa_accum_offset 48
		.amdhsa_reserve_vcc 1
		.amdhsa_reserve_flat_scratch 0
		.amdhsa_float_round_mode_32 0
		.amdhsa_float_round_mode_16_64 0
		.amdhsa_float_denorm_mode_32 3
		.amdhsa_float_denorm_mode_16_64 3
		.amdhsa_dx10_clamp 1
		.amdhsa_ieee_mode 1
		.amdhsa_fp16_overflow 0
		.amdhsa_tg_split 0
		.amdhsa_exception_fp_ieee_invalid_op 0
		.amdhsa_exception_fp_denorm_src 0
		.amdhsa_exception_fp_ieee_div_zero 0
		.amdhsa_exception_fp_ieee_overflow 0
		.amdhsa_exception_fp_ieee_underflow 0
		.amdhsa_exception_fp_ieee_inexact 0
		.amdhsa_exception_int_div_zero 0
	.end_amdhsa_kernel
	.section	.text._ZN2at6native28rrelu_with_noise_cuda_kernelIN3c108BFloat16ELi4EZNS0_28_rrelu_with_noise_cuda_trainIS3_EEvRNS_6TensorERKS5_S6_RKNS2_6ScalarESB_St8optionalINS_9GeneratorEEEUlP25hiprandStatePhilox4_32_10E0_EEviNS_15PhiloxCudaStateEPT_PKSJ_SK_ddRKT1_,"axG",@progbits,_ZN2at6native28rrelu_with_noise_cuda_kernelIN3c108BFloat16ELi4EZNS0_28_rrelu_with_noise_cuda_trainIS3_EEvRNS_6TensorERKS5_S6_RKNS2_6ScalarESB_St8optionalINS_9GeneratorEEEUlP25hiprandStatePhilox4_32_10E0_EEviNS_15PhiloxCudaStateEPT_PKSJ_SK_ddRKT1_,comdat
.Lfunc_end7:
	.size	_ZN2at6native28rrelu_with_noise_cuda_kernelIN3c108BFloat16ELi4EZNS0_28_rrelu_with_noise_cuda_trainIS3_EEvRNS_6TensorERKS5_S6_RKNS2_6ScalarESB_St8optionalINS_9GeneratorEEEUlP25hiprandStatePhilox4_32_10E0_EEviNS_15PhiloxCudaStateEPT_PKSJ_SK_ddRKT1_, .Lfunc_end7-_ZN2at6native28rrelu_with_noise_cuda_kernelIN3c108BFloat16ELi4EZNS0_28_rrelu_with_noise_cuda_trainIS3_EEvRNS_6TensorERKS5_S6_RKNS2_6ScalarESB_St8optionalINS_9GeneratorEEEUlP25hiprandStatePhilox4_32_10E0_EEviNS_15PhiloxCudaStateEPT_PKSJ_SK_ddRKT1_
                                        ; -- End function
	.section	.AMDGPU.csdata,"",@progbits
; Kernel info:
; codeLenInByte = 2484
; NumSgprs: 28
; NumVgprs: 46
; NumAgprs: 0
; TotalNumVgprs: 46
; ScratchSize: 0
; MemoryBound: 0
; FloatMode: 240
; IeeeMode: 1
; LDSByteSize: 0 bytes/workgroup (compile time only)
; SGPRBlocks: 3
; VGPRBlocks: 5
; NumSGPRsForWavesPerEU: 28
; NumVGPRsForWavesPerEU: 46
; AccumOffset: 48
; Occupancy: 8
; WaveLimiterHint : 0
; COMPUTE_PGM_RSRC2:SCRATCH_EN: 0
; COMPUTE_PGM_RSRC2:USER_SGPR: 6
; COMPUTE_PGM_RSRC2:TRAP_HANDLER: 0
; COMPUTE_PGM_RSRC2:TGID_X_EN: 1
; COMPUTE_PGM_RSRC2:TGID_Y_EN: 0
; COMPUTE_PGM_RSRC2:TGID_Z_EN: 0
; COMPUTE_PGM_RSRC2:TIDIG_COMP_CNT: 0
; COMPUTE_PGM_RSRC3_GFX90A:ACCUM_OFFSET: 11
; COMPUTE_PGM_RSRC3_GFX90A:TG_SPLIT: 0
	.text
	.p2alignl 6, 3212836864
	.fill 256, 4, 3212836864
	.type	__hip_cuid_3217f4e8ad68a871,@object ; @__hip_cuid_3217f4e8ad68a871
	.section	.bss,"aw",@nobits
	.globl	__hip_cuid_3217f4e8ad68a871
__hip_cuid_3217f4e8ad68a871:
	.byte	0                               ; 0x0
	.size	__hip_cuid_3217f4e8ad68a871, 1

	.ident	"AMD clang version 19.0.0git (https://github.com/RadeonOpenCompute/llvm-project roc-6.4.0 25133 c7fe45cf4b819c5991fe208aaa96edf142730f1d)"
	.section	".note.GNU-stack","",@progbits
	.addrsig
	.addrsig_sym __hip_cuid_3217f4e8ad68a871
	.amdgpu_metadata
---
amdhsa.kernels:
  - .agpr_count:     0
    .args:
      - .offset:         0
        .size:           4
        .value_kind:     by_value
      - .offset:         8
        .size:           32
        .value_kind:     by_value
      - .address_space:  global
        .offset:         40
        .size:           8
        .value_kind:     global_buffer
      - .address_space:  global
        .offset:         48
        .size:           8
        .value_kind:     global_buffer
      - .address_space:  global
        .offset:         56
        .size:           8
        .value_kind:     global_buffer
      - .offset:         64
        .size:           8
        .value_kind:     by_value
      - .offset:         72
        .size:           8
        .value_kind:     by_value
      - .address_space:  global
        .offset:         80
        .size:           8
        .value_kind:     global_buffer
      - .offset:         88
        .size:           4
        .value_kind:     hidden_block_count_x
      - .offset:         92
        .size:           4
        .value_kind:     hidden_block_count_y
      - .offset:         96
        .size:           4
        .value_kind:     hidden_block_count_z
      - .offset:         100
        .size:           2
        .value_kind:     hidden_group_size_x
      - .offset:         102
        .size:           2
        .value_kind:     hidden_group_size_y
      - .offset:         104
        .size:           2
        .value_kind:     hidden_group_size_z
      - .offset:         106
        .size:           2
        .value_kind:     hidden_remainder_x
      - .offset:         108
        .size:           2
        .value_kind:     hidden_remainder_y
      - .offset:         110
        .size:           2
        .value_kind:     hidden_remainder_z
      - .offset:         128
        .size:           8
        .value_kind:     hidden_global_offset_x
      - .offset:         136
        .size:           8
        .value_kind:     hidden_global_offset_y
      - .offset:         144
        .size:           8
        .value_kind:     hidden_global_offset_z
      - .offset:         152
        .size:           2
        .value_kind:     hidden_grid_dims
    .group_segment_fixed_size: 0
    .kernarg_segment_align: 8
    .kernarg_segment_size: 344
    .language:       OpenCL C
    .language_version:
      - 2
      - 0
    .max_flat_workgroup_size: 256
    .name:           _ZN2at6native28rrelu_with_noise_cuda_kernelIdLi2EZNS0_28_rrelu_with_noise_cuda_trainIdEEvRNS_6TensorERKS3_S4_RKN3c106ScalarESA_St8optionalINS_9GeneratorEEEUlP25hiprandStatePhilox4_32_10E_EEviNS_15PhiloxCudaStateEPT_PKSI_SJ_ddRKT1_
    .private_segment_fixed_size: 0
    .sgpr_count:     25
    .sgpr_spill_count: 0
    .symbol:         _ZN2at6native28rrelu_with_noise_cuda_kernelIdLi2EZNS0_28_rrelu_with_noise_cuda_trainIdEEvRNS_6TensorERKS3_S4_RKN3c106ScalarESA_St8optionalINS_9GeneratorEEEUlP25hiprandStatePhilox4_32_10E_EEviNS_15PhiloxCudaStateEPT_PKSI_SJ_ddRKT1_.kd
    .uniform_work_group_size: 1
    .uses_dynamic_stack: false
    .vgpr_count:     50
    .vgpr_spill_count: 0
    .wavefront_size: 64
  - .agpr_count:     0
    .args:
      - .offset:         0
        .size:           4
        .value_kind:     by_value
      - .offset:         8
        .size:           32
        .value_kind:     by_value
      - .address_space:  global
        .offset:         40
        .size:           8
        .value_kind:     global_buffer
      - .address_space:  global
        .offset:         48
        .size:           8
        .value_kind:     global_buffer
      - .address_space:  global
        .offset:         56
        .size:           8
        .value_kind:     global_buffer
      - .offset:         64
        .size:           8
        .value_kind:     by_value
      - .offset:         72
        .size:           8
        .value_kind:     by_value
      - .address_space:  global
        .offset:         80
        .size:           8
        .value_kind:     global_buffer
      - .offset:         88
        .size:           4
        .value_kind:     hidden_block_count_x
      - .offset:         92
        .size:           4
        .value_kind:     hidden_block_count_y
      - .offset:         96
        .size:           4
        .value_kind:     hidden_block_count_z
      - .offset:         100
        .size:           2
        .value_kind:     hidden_group_size_x
      - .offset:         102
        .size:           2
        .value_kind:     hidden_group_size_y
      - .offset:         104
        .size:           2
        .value_kind:     hidden_group_size_z
      - .offset:         106
        .size:           2
        .value_kind:     hidden_remainder_x
      - .offset:         108
        .size:           2
        .value_kind:     hidden_remainder_y
      - .offset:         110
        .size:           2
        .value_kind:     hidden_remainder_z
      - .offset:         128
        .size:           8
        .value_kind:     hidden_global_offset_x
      - .offset:         136
        .size:           8
        .value_kind:     hidden_global_offset_y
      - .offset:         144
        .size:           8
        .value_kind:     hidden_global_offset_z
      - .offset:         152
        .size:           2
        .value_kind:     hidden_grid_dims
    .group_segment_fixed_size: 0
    .kernarg_segment_align: 8
    .kernarg_segment_size: 344
    .language:       OpenCL C
    .language_version:
      - 2
      - 0
    .max_flat_workgroup_size: 256
    .name:           _ZN2at6native28rrelu_with_noise_cuda_kernelIdLi4EZNS0_28_rrelu_with_noise_cuda_trainIdEEvRNS_6TensorERKS3_S4_RKN3c106ScalarESA_St8optionalINS_9GeneratorEEEUlP25hiprandStatePhilox4_32_10E0_EEviNS_15PhiloxCudaStateEPT_PKSI_SJ_ddRKT1_
    .private_segment_fixed_size: 0
    .sgpr_count:     27
    .sgpr_spill_count: 0
    .symbol:         _ZN2at6native28rrelu_with_noise_cuda_kernelIdLi4EZNS0_28_rrelu_with_noise_cuda_trainIdEEvRNS_6TensorERKS3_S4_RKN3c106ScalarESA_St8optionalINS_9GeneratorEEEUlP25hiprandStatePhilox4_32_10E0_EEviNS_15PhiloxCudaStateEPT_PKSI_SJ_ddRKT1_.kd
    .uniform_work_group_size: 1
    .uses_dynamic_stack: false
    .vgpr_count:     50
    .vgpr_spill_count: 0
    .wavefront_size: 64
  - .agpr_count:     0
    .args:
      - .offset:         0
        .size:           4
        .value_kind:     by_value
      - .offset:         8
        .size:           32
        .value_kind:     by_value
      - .address_space:  global
        .offset:         40
        .size:           8
        .value_kind:     global_buffer
      - .address_space:  global
        .offset:         48
        .size:           8
        .value_kind:     global_buffer
      - .address_space:  global
        .offset:         56
        .size:           8
        .value_kind:     global_buffer
      - .offset:         64
        .size:           8
        .value_kind:     by_value
      - .offset:         72
        .size:           8
        .value_kind:     by_value
      - .address_space:  global
        .offset:         80
        .size:           8
        .value_kind:     global_buffer
      - .offset:         88
        .size:           4
        .value_kind:     hidden_block_count_x
      - .offset:         92
        .size:           4
        .value_kind:     hidden_block_count_y
      - .offset:         96
        .size:           4
        .value_kind:     hidden_block_count_z
      - .offset:         100
        .size:           2
        .value_kind:     hidden_group_size_x
      - .offset:         102
        .size:           2
        .value_kind:     hidden_group_size_y
      - .offset:         104
        .size:           2
        .value_kind:     hidden_group_size_z
      - .offset:         106
        .size:           2
        .value_kind:     hidden_remainder_x
      - .offset:         108
        .size:           2
        .value_kind:     hidden_remainder_y
      - .offset:         110
        .size:           2
        .value_kind:     hidden_remainder_z
      - .offset:         128
        .size:           8
        .value_kind:     hidden_global_offset_x
      - .offset:         136
        .size:           8
        .value_kind:     hidden_global_offset_y
      - .offset:         144
        .size:           8
        .value_kind:     hidden_global_offset_z
      - .offset:         152
        .size:           2
        .value_kind:     hidden_grid_dims
    .group_segment_fixed_size: 0
    .kernarg_segment_align: 8
    .kernarg_segment_size: 344
    .language:       OpenCL C
    .language_version:
      - 2
      - 0
    .max_flat_workgroup_size: 256
    .name:           _ZN2at6native28rrelu_with_noise_cuda_kernelIfLi2EZNS0_28_rrelu_with_noise_cuda_trainIfEEvRNS_6TensorERKS3_S4_RKN3c106ScalarESA_St8optionalINS_9GeneratorEEEUlP25hiprandStatePhilox4_32_10E_EEviNS_15PhiloxCudaStateEPT_PKSI_SJ_ddRKT1_
    .private_segment_fixed_size: 0
    .sgpr_count:     25
    .sgpr_spill_count: 0
    .symbol:         _ZN2at6native28rrelu_with_noise_cuda_kernelIfLi2EZNS0_28_rrelu_with_noise_cuda_trainIfEEvRNS_6TensorERKS3_S4_RKN3c106ScalarESA_St8optionalINS_9GeneratorEEEUlP25hiprandStatePhilox4_32_10E_EEviNS_15PhiloxCudaStateEPT_PKSI_SJ_ddRKT1_.kd
    .uniform_work_group_size: 1
    .uses_dynamic_stack: false
    .vgpr_count:     42
    .vgpr_spill_count: 0
    .wavefront_size: 64
  - .agpr_count:     0
    .args:
      - .offset:         0
        .size:           4
        .value_kind:     by_value
      - .offset:         8
        .size:           32
        .value_kind:     by_value
      - .address_space:  global
        .offset:         40
        .size:           8
        .value_kind:     global_buffer
      - .address_space:  global
        .offset:         48
        .size:           8
        .value_kind:     global_buffer
      - .address_space:  global
        .offset:         56
        .size:           8
        .value_kind:     global_buffer
      - .offset:         64
        .size:           8
        .value_kind:     by_value
      - .offset:         72
        .size:           8
        .value_kind:     by_value
      - .address_space:  global
        .offset:         80
        .size:           8
        .value_kind:     global_buffer
      - .offset:         88
        .size:           4
        .value_kind:     hidden_block_count_x
      - .offset:         92
        .size:           4
        .value_kind:     hidden_block_count_y
      - .offset:         96
        .size:           4
        .value_kind:     hidden_block_count_z
      - .offset:         100
        .size:           2
        .value_kind:     hidden_group_size_x
      - .offset:         102
        .size:           2
        .value_kind:     hidden_group_size_y
      - .offset:         104
        .size:           2
        .value_kind:     hidden_group_size_z
      - .offset:         106
        .size:           2
        .value_kind:     hidden_remainder_x
      - .offset:         108
        .size:           2
        .value_kind:     hidden_remainder_y
      - .offset:         110
        .size:           2
        .value_kind:     hidden_remainder_z
      - .offset:         128
        .size:           8
        .value_kind:     hidden_global_offset_x
      - .offset:         136
        .size:           8
        .value_kind:     hidden_global_offset_y
      - .offset:         144
        .size:           8
        .value_kind:     hidden_global_offset_z
      - .offset:         152
        .size:           2
        .value_kind:     hidden_grid_dims
    .group_segment_fixed_size: 0
    .kernarg_segment_align: 8
    .kernarg_segment_size: 344
    .language:       OpenCL C
    .language_version:
      - 2
      - 0
    .max_flat_workgroup_size: 256
    .name:           _ZN2at6native28rrelu_with_noise_cuda_kernelIfLi4EZNS0_28_rrelu_with_noise_cuda_trainIfEEvRNS_6TensorERKS3_S4_RKN3c106ScalarESA_St8optionalINS_9GeneratorEEEUlP25hiprandStatePhilox4_32_10E0_EEviNS_15PhiloxCudaStateEPT_PKSI_SJ_ddRKT1_
    .private_segment_fixed_size: 0
    .sgpr_count:     27
    .sgpr_spill_count: 0
    .symbol:         _ZN2at6native28rrelu_with_noise_cuda_kernelIfLi4EZNS0_28_rrelu_with_noise_cuda_trainIfEEvRNS_6TensorERKS3_S4_RKN3c106ScalarESA_St8optionalINS_9GeneratorEEEUlP25hiprandStatePhilox4_32_10E0_EEviNS_15PhiloxCudaStateEPT_PKSI_SJ_ddRKT1_.kd
    .uniform_work_group_size: 1
    .uses_dynamic_stack: false
    .vgpr_count:     44
    .vgpr_spill_count: 0
    .wavefront_size: 64
  - .agpr_count:     0
    .args:
      - .offset:         0
        .size:           4
        .value_kind:     by_value
      - .offset:         8
        .size:           32
        .value_kind:     by_value
      - .address_space:  global
        .offset:         40
        .size:           8
        .value_kind:     global_buffer
      - .address_space:  global
        .offset:         48
        .size:           8
        .value_kind:     global_buffer
      - .address_space:  global
        .offset:         56
        .size:           8
        .value_kind:     global_buffer
      - .offset:         64
        .size:           8
        .value_kind:     by_value
      - .offset:         72
        .size:           8
        .value_kind:     by_value
      - .address_space:  global
        .offset:         80
        .size:           8
        .value_kind:     global_buffer
      - .offset:         88
        .size:           4
        .value_kind:     hidden_block_count_x
      - .offset:         92
        .size:           4
        .value_kind:     hidden_block_count_y
      - .offset:         96
        .size:           4
        .value_kind:     hidden_block_count_z
      - .offset:         100
        .size:           2
        .value_kind:     hidden_group_size_x
      - .offset:         102
        .size:           2
        .value_kind:     hidden_group_size_y
      - .offset:         104
        .size:           2
        .value_kind:     hidden_group_size_z
      - .offset:         106
        .size:           2
        .value_kind:     hidden_remainder_x
      - .offset:         108
        .size:           2
        .value_kind:     hidden_remainder_y
      - .offset:         110
        .size:           2
        .value_kind:     hidden_remainder_z
      - .offset:         128
        .size:           8
        .value_kind:     hidden_global_offset_x
      - .offset:         136
        .size:           8
        .value_kind:     hidden_global_offset_y
      - .offset:         144
        .size:           8
        .value_kind:     hidden_global_offset_z
      - .offset:         152
        .size:           2
        .value_kind:     hidden_grid_dims
    .group_segment_fixed_size: 0
    .kernarg_segment_align: 8
    .kernarg_segment_size: 344
    .language:       OpenCL C
    .language_version:
      - 2
      - 0
    .max_flat_workgroup_size: 256
    .name:           _ZN2at6native28rrelu_with_noise_cuda_kernelIN3c104HalfELi2EZNS0_28_rrelu_with_noise_cuda_trainIS3_EEvRNS_6TensorERKS5_S6_RKNS2_6ScalarESB_St8optionalINS_9GeneratorEEEUlP25hiprandStatePhilox4_32_10E_EEviNS_15PhiloxCudaStateEPT_PKSJ_SK_ddRKT1_
    .private_segment_fixed_size: 0
    .sgpr_count:     25
    .sgpr_spill_count: 0
    .symbol:         _ZN2at6native28rrelu_with_noise_cuda_kernelIN3c104HalfELi2EZNS0_28_rrelu_with_noise_cuda_trainIS3_EEvRNS_6TensorERKS5_S6_RKNS2_6ScalarESB_St8optionalINS_9GeneratorEEEUlP25hiprandStatePhilox4_32_10E_EEviNS_15PhiloxCudaStateEPT_PKSJ_SK_ddRKT1_.kd
    .uniform_work_group_size: 1
    .uses_dynamic_stack: false
    .vgpr_count:     43
    .vgpr_spill_count: 0
    .wavefront_size: 64
  - .agpr_count:     0
    .args:
      - .offset:         0
        .size:           4
        .value_kind:     by_value
      - .offset:         8
        .size:           32
        .value_kind:     by_value
      - .address_space:  global
        .offset:         40
        .size:           8
        .value_kind:     global_buffer
      - .address_space:  global
        .offset:         48
        .size:           8
        .value_kind:     global_buffer
      - .address_space:  global
        .offset:         56
        .size:           8
        .value_kind:     global_buffer
      - .offset:         64
        .size:           8
        .value_kind:     by_value
      - .offset:         72
        .size:           8
        .value_kind:     by_value
      - .address_space:  global
        .offset:         80
        .size:           8
        .value_kind:     global_buffer
      - .offset:         88
        .size:           4
        .value_kind:     hidden_block_count_x
      - .offset:         92
        .size:           4
        .value_kind:     hidden_block_count_y
      - .offset:         96
        .size:           4
        .value_kind:     hidden_block_count_z
      - .offset:         100
        .size:           2
        .value_kind:     hidden_group_size_x
      - .offset:         102
        .size:           2
        .value_kind:     hidden_group_size_y
      - .offset:         104
        .size:           2
        .value_kind:     hidden_group_size_z
      - .offset:         106
        .size:           2
        .value_kind:     hidden_remainder_x
      - .offset:         108
        .size:           2
        .value_kind:     hidden_remainder_y
      - .offset:         110
        .size:           2
        .value_kind:     hidden_remainder_z
      - .offset:         128
        .size:           8
        .value_kind:     hidden_global_offset_x
      - .offset:         136
        .size:           8
        .value_kind:     hidden_global_offset_y
      - .offset:         144
        .size:           8
        .value_kind:     hidden_global_offset_z
      - .offset:         152
        .size:           2
        .value_kind:     hidden_grid_dims
    .group_segment_fixed_size: 0
    .kernarg_segment_align: 8
    .kernarg_segment_size: 344
    .language:       OpenCL C
    .language_version:
      - 2
      - 0
    .max_flat_workgroup_size: 256
    .name:           _ZN2at6native28rrelu_with_noise_cuda_kernelIN3c104HalfELi4EZNS0_28_rrelu_with_noise_cuda_trainIS3_EEvRNS_6TensorERKS5_S6_RKNS2_6ScalarESB_St8optionalINS_9GeneratorEEEUlP25hiprandStatePhilox4_32_10E0_EEviNS_15PhiloxCudaStateEPT_PKSJ_SK_ddRKT1_
    .private_segment_fixed_size: 0
    .sgpr_count:     28
    .sgpr_spill_count: 0
    .symbol:         _ZN2at6native28rrelu_with_noise_cuda_kernelIN3c104HalfELi4EZNS0_28_rrelu_with_noise_cuda_trainIS3_EEvRNS_6TensorERKS5_S6_RKNS2_6ScalarESB_St8optionalINS_9GeneratorEEEUlP25hiprandStatePhilox4_32_10E0_EEviNS_15PhiloxCudaStateEPT_PKSJ_SK_ddRKT1_.kd
    .uniform_work_group_size: 1
    .uses_dynamic_stack: false
    .vgpr_count:     44
    .vgpr_spill_count: 0
    .wavefront_size: 64
  - .agpr_count:     0
    .args:
      - .offset:         0
        .size:           4
        .value_kind:     by_value
      - .offset:         8
        .size:           32
        .value_kind:     by_value
      - .address_space:  global
        .offset:         40
        .size:           8
        .value_kind:     global_buffer
      - .address_space:  global
        .offset:         48
        .size:           8
        .value_kind:     global_buffer
      - .address_space:  global
        .offset:         56
        .size:           8
        .value_kind:     global_buffer
      - .offset:         64
        .size:           8
        .value_kind:     by_value
      - .offset:         72
        .size:           8
        .value_kind:     by_value
      - .address_space:  global
        .offset:         80
        .size:           8
        .value_kind:     global_buffer
      - .offset:         88
        .size:           4
        .value_kind:     hidden_block_count_x
      - .offset:         92
        .size:           4
        .value_kind:     hidden_block_count_y
      - .offset:         96
        .size:           4
        .value_kind:     hidden_block_count_z
      - .offset:         100
        .size:           2
        .value_kind:     hidden_group_size_x
      - .offset:         102
        .size:           2
        .value_kind:     hidden_group_size_y
      - .offset:         104
        .size:           2
        .value_kind:     hidden_group_size_z
      - .offset:         106
        .size:           2
        .value_kind:     hidden_remainder_x
      - .offset:         108
        .size:           2
        .value_kind:     hidden_remainder_y
      - .offset:         110
        .size:           2
        .value_kind:     hidden_remainder_z
      - .offset:         128
        .size:           8
        .value_kind:     hidden_global_offset_x
      - .offset:         136
        .size:           8
        .value_kind:     hidden_global_offset_y
      - .offset:         144
        .size:           8
        .value_kind:     hidden_global_offset_z
      - .offset:         152
        .size:           2
        .value_kind:     hidden_grid_dims
    .group_segment_fixed_size: 0
    .kernarg_segment_align: 8
    .kernarg_segment_size: 344
    .language:       OpenCL C
    .language_version:
      - 2
      - 0
    .max_flat_workgroup_size: 256
    .name:           _ZN2at6native28rrelu_with_noise_cuda_kernelIN3c108BFloat16ELi2EZNS0_28_rrelu_with_noise_cuda_trainIS3_EEvRNS_6TensorERKS5_S6_RKNS2_6ScalarESB_St8optionalINS_9GeneratorEEEUlP25hiprandStatePhilox4_32_10E_EEviNS_15PhiloxCudaStateEPT_PKSJ_SK_ddRKT1_
    .private_segment_fixed_size: 0
    .sgpr_count:     26
    .sgpr_spill_count: 0
    .symbol:         _ZN2at6native28rrelu_with_noise_cuda_kernelIN3c108BFloat16ELi2EZNS0_28_rrelu_with_noise_cuda_trainIS3_EEvRNS_6TensorERKS5_S6_RKNS2_6ScalarESB_St8optionalINS_9GeneratorEEEUlP25hiprandStatePhilox4_32_10E_EEviNS_15PhiloxCudaStateEPT_PKSJ_SK_ddRKT1_.kd
    .uniform_work_group_size: 1
    .uses_dynamic_stack: false
    .vgpr_count:     46
    .vgpr_spill_count: 0
    .wavefront_size: 64
  - .agpr_count:     0
    .args:
      - .offset:         0
        .size:           4
        .value_kind:     by_value
      - .offset:         8
        .size:           32
        .value_kind:     by_value
      - .address_space:  global
        .offset:         40
        .size:           8
        .value_kind:     global_buffer
      - .address_space:  global
        .offset:         48
        .size:           8
        .value_kind:     global_buffer
      - .address_space:  global
        .offset:         56
        .size:           8
        .value_kind:     global_buffer
      - .offset:         64
        .size:           8
        .value_kind:     by_value
      - .offset:         72
        .size:           8
        .value_kind:     by_value
      - .address_space:  global
        .offset:         80
        .size:           8
        .value_kind:     global_buffer
      - .offset:         88
        .size:           4
        .value_kind:     hidden_block_count_x
      - .offset:         92
        .size:           4
        .value_kind:     hidden_block_count_y
      - .offset:         96
        .size:           4
        .value_kind:     hidden_block_count_z
      - .offset:         100
        .size:           2
        .value_kind:     hidden_group_size_x
      - .offset:         102
        .size:           2
        .value_kind:     hidden_group_size_y
      - .offset:         104
        .size:           2
        .value_kind:     hidden_group_size_z
      - .offset:         106
        .size:           2
        .value_kind:     hidden_remainder_x
      - .offset:         108
        .size:           2
        .value_kind:     hidden_remainder_y
      - .offset:         110
        .size:           2
        .value_kind:     hidden_remainder_z
      - .offset:         128
        .size:           8
        .value_kind:     hidden_global_offset_x
      - .offset:         136
        .size:           8
        .value_kind:     hidden_global_offset_y
      - .offset:         144
        .size:           8
        .value_kind:     hidden_global_offset_z
      - .offset:         152
        .size:           2
        .value_kind:     hidden_grid_dims
    .group_segment_fixed_size: 0
    .kernarg_segment_align: 8
    .kernarg_segment_size: 344
    .language:       OpenCL C
    .language_version:
      - 2
      - 0
    .max_flat_workgroup_size: 256
    .name:           _ZN2at6native28rrelu_with_noise_cuda_kernelIN3c108BFloat16ELi4EZNS0_28_rrelu_with_noise_cuda_trainIS3_EEvRNS_6TensorERKS5_S6_RKNS2_6ScalarESB_St8optionalINS_9GeneratorEEEUlP25hiprandStatePhilox4_32_10E0_EEviNS_15PhiloxCudaStateEPT_PKSJ_SK_ddRKT1_
    .private_segment_fixed_size: 0
    .sgpr_count:     28
    .sgpr_spill_count: 0
    .symbol:         _ZN2at6native28rrelu_with_noise_cuda_kernelIN3c108BFloat16ELi4EZNS0_28_rrelu_with_noise_cuda_trainIS3_EEvRNS_6TensorERKS5_S6_RKNS2_6ScalarESB_St8optionalINS_9GeneratorEEEUlP25hiprandStatePhilox4_32_10E0_EEviNS_15PhiloxCudaStateEPT_PKSJ_SK_ddRKT1_.kd
    .uniform_work_group_size: 1
    .uses_dynamic_stack: false
    .vgpr_count:     46
    .vgpr_spill_count: 0
    .wavefront_size: 64
amdhsa.target:   amdgcn-amd-amdhsa--gfx90a
amdhsa.version:
  - 1
  - 2
...

	.end_amdgpu_metadata
